;; amdgpu-corpus repo=ROCm/Tensile kind=harvested arch=n/a opt=n/a

/******************************************/
/* Function Prefix                        */
/******************************************/



/******************************************/
/* Begin Kernel                           */
/******************************************/

// Component.Signature.SignatureDefault
.amdgcn_target "amdgcn-amd-amdhsa--gfx942"
.text
.protected Cijk_Ailk_Bjlk_HHS_BH_MT128x128x32_MI16x16x16x1_SN_1LDSB0_APM1_AF0EM1_AF1EM1_AMAS3_ASE_ASGT3128_ASLT_ASM_ASAE01_ASCE01_ASEM1_BL1_BS1_CLR1_DTVA0_DTVB0_ETSP_EPS1_ELFLR4_EMLL0_FSSC10_FL0_GLVWA8_GLVWB8_GRCGA1_GRPM1_GRVW8_GSU1_GSUASB_GLS0_IU1_K1_LBSPPA0_LBSPPB1024_LPA0_LPB32_LRVW4_LWPMn1_MIAV0_MKFGSU256_NTA0_NTB0_NTC0_NTD0_NEPBS16_NLCA1_NLCB1_ONLL1_PGR2_PLR3_PKA0_SIA3_SLW1_SS1_SU8_SUM0_SUS128_SPO0_SRVW0_SSO4_SVW4_TSGRA0_TSGRB0_TT4_64_TLDS0_UMLDSA0_UMLDSB0_USFGROn1_VAW1_VSn1_VW4_VWB2_VFLRP1_WSGRA1_WSGRB0_WG32_8_1_WGM1
.globl Cijk_Ailk_Bjlk_HHS_BH_MT128x128x32_MI16x16x16x1_SN_1LDSB0_APM1_AF0EM1_AF1EM1_AMAS3_ASE_ASGT3128_ASLT_ASM_ASAE01_ASCE01_ASEM1_BL1_BS1_CLR1_DTVA0_DTVB0_ETSP_EPS1_ELFLR4_EMLL0_FSSC10_FL0_GLVWA8_GLVWB8_GRCGA1_GRPM1_GRVW8_GSU1_GSUASB_GLS0_IU1_K1_LBSPPA0_LBSPPB1024_LPA0_LPB32_LRVW4_LWPMn1_MIAV0_MKFGSU256_NTA0_NTB0_NTC0_NTD0_NEPBS16_NLCA1_NLCB1_ONLL1_PGR2_PLR3_PKA0_SIA3_SLW1_SS1_SU8_SUM0_SUS128_SPO0_SRVW0_SSO4_SVW4_TSGRA0_TSGRB0_TT4_64_TLDS0_UMLDSA0_UMLDSB0_USFGROn1_VAW1_VSn1_VW4_VWB2_VFLRP1_WSGRA1_WSGRB0_WG32_8_1_WGM1
.p2align 8
.type Cijk_Ailk_Bjlk_HHS_BH_MT128x128x32_MI16x16x16x1_SN_1LDSB0_APM1_AF0EM1_AF1EM1_AMAS3_ASE_ASGT3128_ASLT_ASM_ASAE01_ASCE01_ASEM1_BL1_BS1_CLR1_DTVA0_DTVB0_ETSP_EPS1_ELFLR4_EMLL0_FSSC10_FL0_GLVWA8_GLVWB8_GRCGA1_GRPM1_GRVW8_GSU1_GSUASB_GLS0_IU1_K1_LBSPPA0_LBSPPB1024_LPA0_LPB32_LRVW4_LWPMn1_MIAV0_MKFGSU256_NTA0_NTB0_NTC0_NTD0_NEPBS16_NLCA1_NLCB1_ONLL1_PGR2_PLR3_PKA0_SIA3_SLW1_SS1_SU8_SUM0_SUS128_SPO0_SRVW0_SSO4_SVW4_TSGRA0_TSGRB0_TT4_64_TLDS0_UMLDSA0_UMLDSB0_USFGROn1_VAW1_VSn1_VW4_VWB2_VFLRP1_WSGRA1_WSGRB0_WG32_8_1_WGM1,@function
.section .rodata,#alloc
.p2align 6
.amdhsa_kernel Cijk_Ailk_Bjlk_HHS_BH_MT128x128x32_MI16x16x16x1_SN_1LDSB0_APM1_AF0EM1_AF1EM1_AMAS3_ASE_ASGT3128_ASLT_ASM_ASAE01_ASCE01_ASEM1_BL1_BS1_CLR1_DTVA0_DTVB0_ETSP_EPS1_ELFLR4_EMLL0_FSSC10_FL0_GLVWA8_GLVWB8_GRCGA1_GRPM1_GRVW8_GSU1_GSUASB_GLS0_IU1_K1_LBSPPA0_LBSPPB1024_LPA0_LPB32_LRVW4_LWPMn1_MIAV0_MKFGSU256_NTA0_NTB0_NTC0_NTD0_NEPBS16_NLCA1_NLCB1_ONLL1_PGR2_PLR3_PKA0_SIA3_SLW1_SS1_SU8_SUM0_SUS128_SPO0_SRVW0_SSO4_SVW4_TSGRA0_TSGRB0_TT4_64_TLDS0_UMLDSA0_UMLDSB0_USFGROn1_VAW1_VSn1_VW4_VWB2_VFLRP1_WSGRA1_WSGRB0_WG32_8_1_WGM1
  .amdhsa_user_sgpr_kernarg_segment_ptr 1
  .amdhsa_user_sgpr_kernarg_preload_offset 0
  .amdhsa_user_sgpr_kernarg_preload_length 0
  .amdhsa_user_sgpr_count 2
  .amdhsa_accum_offset 256 // accvgpr offset
  .amdhsa_next_free_vgpr 320 // vgprs
  .amdhsa_next_free_sgpr 62 // sgprs
  .amdhsa_group_segment_fixed_size 49664 // lds bytes
  .amdhsa_private_segment_fixed_size 0
  .amdhsa_system_sgpr_workgroup_id_x 1
  .amdhsa_system_sgpr_workgroup_id_y 1
  .amdhsa_system_sgpr_workgroup_id_z 1
  .amdhsa_system_vgpr_workitem_id 0
  .amdhsa_float_denorm_mode_32 3
  .amdhsa_float_denorm_mode_16_64 3
.end_amdhsa_kernel
.text

/******************************************/
/* Optimizations and Config:              */
/******************************************/
/* ThreadTile= 16 x 4 */
/* SubGroup= 8 x 32 */
/* VectorWidthA=4 */
/* VectorWidthB=2 */
/* GlobalLoadVectorWidthA=8, GlobalLoadVectorWidthB=8 */
/* DirectToLdsA=False */
/* DirectToLdsB=False */
/* UseSgprForGRO=False */
.amdgpu_metadata
---
amdhsa.version:
  - 1
  - 1
amdhsa.target: amdgcn-amd-amdhsa--gfx942
amdhsa.kernels:
  - .name: Cijk_Ailk_Bjlk_HHS_BH_MT128x128x32_MI16x16x16x1_SN_1LDSB0_APM1_AF0EM1_AF1EM1_AMAS3_ASE_ASGT3128_ASLT_ASM_ASAE01_ASCE01_ASEM1_BL1_BS1_CLR1_DTVA0_DTVB0_ETSP_EPS1_ELFLR4_EMLL0_FSSC10_FL0_GLVWA8_GLVWB8_GRCGA1_GRPM1_GRVW8_GSU1_GSUASB_GLS0_IU1_K1_LBSPPA0_LBSPPB1024_LPA0_LPB32_LRVW4_LWPMn1_MIAV0_MKFGSU256_NTA0_NTB0_NTC0_NTD0_NEPBS16_NLCA1_NLCB1_ONLL1_PGR2_PLR3_PKA0_SIA3_SLW1_SS1_SU8_SUM0_SUS128_SPO0_SRVW0_SSO4_SVW4_TSGRA0_TSGRB0_TT4_64_TLDS0_UMLDSA0_UMLDSB0_USFGROn1_VAW1_VSn1_VW4_VWB2_VFLRP1_WSGRA1_WSGRB0_WG32_8_1_WGM1
    .symbol: 'Cijk_Ailk_Bjlk_HHS_BH_MT128x128x32_MI16x16x16x1_SN_1LDSB0_APM1_AF0EM1_AF1EM1_AMAS3_ASE_ASGT3128_ASLT_ASM_ASAE01_ASCE01_ASEM1_BL1_BS1_CLR1_DTVA0_DTVB0_ETSP_EPS1_ELFLR4_EMLL0_FSSC10_FL0_GLVWA8_GLVWB8_GRCGA1_GRPM1_GRVW8_GSU1_GSUASB_GLS0_IU1_K1_LBSPPA0_LBSPPB1024_LPA0_LPB32_LRVW4_LWPMn1_MIAV0_MKFGSU256_NTA0_NTB0_NTC0_NTD0_NEPBS16_NLCA1_NLCB1_ONLL1_PGR2_PLR3_PKA0_SIA3_SLW1_SS1_SU8_SUM0_SUS128_SPO0_SRVW0_SSO4_SVW4_TSGRA0_TSGRB0_TT4_64_TLDS0_UMLDSA0_UMLDSB0_USFGROn1_VAW1_VSn1_VW4_VWB2_VFLRP1_WSGRA1_WSGRB0_WG32_8_1_WGM1.kd'
    .language:                   OpenCL C
    .language_version:
      - 2
      - 0
    .args:
      - .name:            Tensor2dSizeA
        .size:            8
        .offset:          0
        .value_kind:      by_value
        .value_type:      u64
      - .name:            Tensor2dSizeB
        .size:            8
        .offset:          8
        .value_kind:      by_value
        .value_type:      u64
      - .name:            AddressD
        .size:            8
        .offset:          16
        .value_kind:      by_value
        .value_type:      u64
      - .name:            AddressC
        .size:            8
        .offset:          24
        .value_kind:      by_value
        .value_type:      u64
      - .name:            AddressA
        .size:            8
        .offset:          32
        .value_kind:      by_value
        .value_type:      u64
      - .name:            AddressB
        .size:            8
        .offset:          40
        .value_kind:      by_value
        .value_type:      u64
      - .name:            Alpha
        .size:            4
        .offset:          48
        .value_kind:      by_value
        .value_type:      u32
      - .name:            Beta
        .size:            4
        .offset:          52
        .value_kind:      by_value
        .value_type:      u32
      - .name:            StridesD
        .size:            8
        .offset:          56
        .value_kind:      by_value
        .value_type:      u64
      - .name:            StridesC
        .size:            8
        .offset:          64
        .value_kind:      by_value
        .value_type:      u64
      - .name:            StridesA
        .size:            8
        .offset:          72
        .value_kind:      by_value
        .value_type:      u64
      - .name:            StridesB
        .size:            8
        .offset:          80
        .value_kind:      by_value
        .value_type:      u64
      - .name:            SizesFree
        .size:            12
        .offset:          88
        .value_kind:      by_value
        .value_type:      u96
      - .name:            SizesSum
        .size:            4
        .offset:          100
        .value_kind:      by_value
        .value_type:      u32
      - .name:            OrigStaggerUIter
        .size:            4
        .offset:          104
        .value_kind:      by_value
        .value_type:      u32
      - .name:            NumWorkGroups0
        .size:            4
        .offset:          108
        .value_kind:      by_value
        .value_type:      u32
      - .name:            NumWorkGroups1
        .size:            4
        .offset:          112
        .value_kind:      by_value
        .value_type:      u32
    .group_segment_fixed_size:   49664
    .kernarg_segment_align:      8
    .kernarg_segment_size:       120
    .max_flat_workgroup_size:    256
    .private_segment_fixed_size: 0
    .sgpr_count:                 62
    .sgpr_spill_count:           0
    .vgpr_count:                 256
    .vgpr_spill_count:           0
    .wavefront_size:             64
...
.end_amdgpu_metadata
Cijk_Ailk_Bjlk_HHS_BH_MT128x128x32_MI16x16x16x1_SN_1LDSB0_APM1_AF0EM1_AF1EM1_AMAS3_ASE_ASGT3128_ASLT_ASM_ASAE01_ASCE01_ASEM1_BL1_BS1_CLR1_DTVA0_DTVB0_ETSP_EPS1_ELFLR4_EMLL0_FSSC10_FL0_GLVWA8_GLVWB8_GRCGA1_GRPM1_GRVW8_GSU1_GSUASB_GLS0_IU1_K1_LBSPPA0_LBSPPB1024_LPA0_LPB32_LRVW4_LWPMn1_MIAV0_MKFGSU256_NTA0_NTB0_NTC0_NTD0_NEPBS16_NLCA1_NLCB1_ONLL1_PGR2_PLR3_PKA0_SIA3_SLW1_SS1_SU8_SUM0_SUS128_SPO0_SRVW0_SSO4_SVW4_TSGRA0_TSGRB0_TT4_64_TLDS0_UMLDSA0_UMLDSB0_USFGROn1_VAW1_VSn1_VW4_VWB2_VFLRP1_WSGRA1_WSGRB0_WG32_8_1_WGM1:

/******************************************/
/* Asm syntax workarounds                 */
/******************************************/
.macro _v_add_co_u32 dst:req, cc:req, src0:req, src1:req, dpp=
   v_add_co_u32 \dst, \cc, \src0, \src1 \dpp
.endm

.macro _v_add_u32 dst:req, src0:req, src1:req, dpp=
   v_add_u32 \dst, \src0, \src1 \dpp
.endm

.macro _v_add_i32 dst:req, src0:req, src1:req, dpp=
   v_add_i32 \dst, \src0, \src1 \dpp
.endm

.macro _v_addc_co_u32 dst:req, ccOut:req, src0:req, ccIn:req, src1:req, dpp=
   v_addc_co_u32 \dst, \ccOut, \src0, \ccIn, \src1 \dpp
.endm

.macro _v_sub_co_u32 dst:req, cc:req, src0:req, src1:req, dpp=
   v_sub_co_u32 \dst, \cc, \src0, \src1 \dpp
.endm

.macro _v_sub_u32 dst:req, src0:req, src1:req, dpp=
   v_sub_u32 \dst, \src0, \src1 \dpp
.endm

.macro _v_sub_i32 dst:req, src0:req, src1:req, dpp=
   v_sub_i32 \dst, \src0, \src1 \dpp
.endm

.macro _v_add_lshl_u32 dst:req, src0:req, src1:req, shiftCnt:req
    v_add_lshl_u32 \dst, \src0, \src1, \shiftCnt
.endm

.macro _v_lshl_add_u32 dst:req, src0:req, src1:req, shiftCnt:req
    v_lshl_add_u32 \dst, \src0, \src1, \shiftCnt
.endm

.macro _v_lshl_or_b32 dst:req, src0:req, shiftCnt:req, src1:req
    v_lshl_or_b32 \dst, \src0, \shiftCnt, \src1
.endm

.macro _v_dot2acc_f32_f16 dst, src0, src1
v_dot2c_f32_f16 \dst, \src0, \src1
.endm

.macro _v_cmpx_lt_i16 dst, src0, src1=
   v_cmpx_lt_i16 \dst, \src0, \src1 
.endm

.macro _v_cmpx_lt_i32 dst, src0, src1=
   v_cmpx_lt_i32 \dst, \src0, \src1 
.endm

.macro _v_cmpx_lt_i64 dst, src0, src1=
   v_cmpx_lt_i64 \dst, \src0, \src1 
.endm

.macro _v_cmpx_lt_u16 dst, src0, src1=
   v_cmpx_lt_u16 \dst, \src0, \src1 
.endm

.macro _v_cmpx_lt_u32 dst, src0, src1=
   v_cmpx_lt_u32 \dst, \src0, \src1 
.endm

.macro _v_cmpx_lt_u64 dst, src0, src1=
   v_cmpx_lt_u64 \dst, \src0, \src1 
.endm

.macro _v_cmpx_eq_i16 dst, src0, src1=
   v_cmpx_eq_i16 \dst, \src0, \src1 
.endm

.macro _v_cmpx_eq_i32 dst, src0, src1=
   v_cmpx_eq_i32 \dst, \src0, \src1 
.endm

.macro _v_cmpx_eq_i64 dst, src0, src1=
   v_cmpx_eq_i64 \dst, \src0, \src1 
.endm

.macro _v_cmpx_eq_u16 dst, src0, src1=
   v_cmpx_eq_u16 \dst, \src0, \src1 
.endm

.macro _v_cmpx_eq_u32 dst, src0, src1=
   v_cmpx_eq_u32 \dst, \src0, \src1 
.endm

.macro _v_cmpx_eq_u64 dst, src0, src1=
   v_cmpx_eq_u64 \dst, \src0, \src1 
.endm

.macro _v_cmpx_le_i16 dst, src0, src1=
   v_cmpx_le_i16 \dst, \src0, \src1 
.endm

.macro _v_cmpx_le_i32 dst, src0, src1=
   v_cmpx_le_i32 \dst, \src0, \src1 
.endm

.macro _v_cmpx_le_i64 dst, src0, src1=
   v_cmpx_le_i64 \dst, \src0, \src1 
.endm

.macro _v_cmpx_le_u16 dst, src0, src1=
   v_cmpx_le_u16 \dst, \src0, \src1 
.endm

.macro _v_cmpx_le_u32 dst, src0, src1=
   v_cmpx_le_u32 \dst, \src0, \src1 
.endm

.macro _v_cmpx_le_u64 dst, src0, src1=
   v_cmpx_le_u64 \dst, \src0, \src1 
.endm

.macro _v_cmpx_gt_i16 dst, src0, src1=
   v_cmpx_gt_i16 \dst, \src0, \src1 
.endm

.macro _v_cmpx_gt_i32 dst, src0, src1=
   v_cmpx_gt_i32 \dst, \src0, \src1 
.endm

.macro _v_cmpx_gt_i64 dst, src0, src1=
   v_cmpx_gt_i64 \dst, \src0, \src1 
.endm

.macro _v_cmpx_gt_u16 dst, src0, src1=
   v_cmpx_gt_u16 \dst, \src0, \src1 
.endm

.macro _v_cmpx_gt_u32 dst, src0, src1=
   v_cmpx_gt_u32 \dst, \src0, \src1 
.endm

.macro _v_cmpx_gt_u64 dst, src0, src1=
   v_cmpx_gt_u64 \dst, \src0, \src1 
.endm

.macro _v_cmpx_ne_i16 dst, src0, src1=
   v_cmpx_ne_i16 \dst, \src0, \src1 
.endm

.macro _v_cmpx_ne_i32 dst, src0, src1=
   v_cmpx_ne_i32 \dst, \src0, \src1 
.endm

.macro _v_cmpx_ne_i64 dst, src0, src1=
   v_cmpx_ne_i64 \dst, \src0, \src1 
.endm

.macro _v_cmpx_ne_u16 dst, src0, src1=
   v_cmpx_ne_u16 \dst, \src0, \src1 
.endm

.macro _v_cmpx_ne_u32 dst, src0, src1=
   v_cmpx_ne_u32 \dst, \src0, \src1 
.endm

.macro _v_cmpx_ne_u64 dst, src0, src1=
   v_cmpx_ne_u64 \dst, \src0, \src1 
.endm

.macro _v_cmpx_lg_i16 dst, src0, src1=
   v_cmpx_lg_i16 \dst, \src0, \src1 
.endm

.macro _v_cmpx_lg_i32 dst, src0, src1=
   v_cmpx_lg_i32 \dst, \src0, \src1 
.endm

.macro _v_cmpx_lg_i64 dst, src0, src1=
   v_cmpx_lg_i64 \dst, \src0, \src1 
.endm

.macro _v_cmpx_lg_u16 dst, src0, src1=
   v_cmpx_lg_u16 \dst, \src0, \src1 
.endm

.macro _v_cmpx_lg_u32 dst, src0, src1=
   v_cmpx_lg_u32 \dst, \src0, \src1 
.endm

.macro _v_cmpx_lg_u64 dst, src0, src1=
   v_cmpx_lg_u64 \dst, \src0, \src1 
.endm

.macro _v_cmpx_ge_i16 dst, src0, src1=
   v_cmpx_ge_i16 \dst, \src0, \src1 
.endm

.macro _v_cmpx_ge_i32 dst, src0, src1=
   v_cmpx_ge_i32 \dst, \src0, \src1 
.endm

.macro _v_cmpx_ge_i64 dst, src0, src1=
   v_cmpx_ge_i64 \dst, \src0, \src1 
.endm

.macro _v_cmpx_ge_u16 dst, src0, src1=
   v_cmpx_ge_u16 \dst, \src0, \src1 
.endm

.macro _v_cmpx_ge_u32 dst, src0, src1=
   v_cmpx_ge_u32 \dst, \src0, \src1 
.endm

.macro _v_cmpx_ge_u64 dst, src0, src1=
   v_cmpx_ge_u64 \dst, \src0, \src1 
.endm

.macro _v_cmpx_o_i16 dst, src0, src1=
   v_cmpx_o_i16 \dst, \src0, \src1 
.endm

.macro _v_cmpx_o_i32 dst, src0, src1=
   v_cmpx_o_i32 \dst, \src0, \src1 
.endm

.macro _v_cmpx_o_i64 dst, src0, src1=
   v_cmpx_o_i64 \dst, \src0, \src1 
.endm

.macro _v_cmpx_o_u16 dst, src0, src1=
   v_cmpx_o_u16 \dst, \src0, \src1 
.endm

.macro _v_cmpx_o_u32 dst, src0, src1=
   v_cmpx_o_u32 \dst, \src0, \src1 
.endm

.macro _v_cmpx_o_u64 dst, src0, src1=
   v_cmpx_o_u64 \dst, \src0, \src1 
.endm

.macro _v_cmpx_u_i16 dst, src0, src1=
   v_cmpx_u_i16 \dst, \src0, \src1 
.endm

.macro _v_cmpx_u_i32 dst, src0, src1=
   v_cmpx_u_i32 \dst, \src0, \src1 
.endm

.macro _v_cmpx_u_i64 dst, src0, src1=
   v_cmpx_u_i64 \dst, \src0, \src1 
.endm

.macro _v_cmpx_u_u16 dst, src0, src1=
   v_cmpx_u_u16 \dst, \src0, \src1 
.endm

.macro _v_cmpx_u_u32 dst, src0, src1=
   v_cmpx_u_u32 \dst, \src0, \src1 
.endm

.macro _v_cmpx_u_u64 dst, src0, src1=
   v_cmpx_u_u64 \dst, \src0, \src1 
.endm
.macro _v_mac_f32 c:req, a:req, b:req
    v_fmac_f32 \c, \a, \b
.endmacro

/* scale global load macros */
.macro _s_load_b32 dst base offset
    s_load_dword \dst \base \offset
.endm

.macro _s_load_b64 dst base offset
    s_load_dwordx2 \dst \base \offset
.endm

.macro _s_load_b128 dst base offset
    s_load_dwordx4 \dst \base \offset
.endm

.macro _s_load_b256 dst base offset
    s_load_dwordx8 \dst \base \offset
.endm

.macro _s_load_b512 dst base offset
    s_load_dwordx16 \dst \base \offset
.endm


/* ds operation macros */
.macro _ds_load_u8 dst src offset
    ds_read_u8 \dst \src \offset
.endm

.macro _ds_load_u8_d16_hi dst src offset
    ds_read_u8_d16_hi \dst \src \offset
.endm

.macro _ds_load_u16 dst src offset
    ds_read_u16 \dst \src \offset
.endm

.macro _ds_load_u16_d16_hi dst src offset
    ds_read_u16_d16_hi \dst \src \offset
.endm

.macro _ds_load_b32 dst src offset
    ds_read_b32 \dst \src \offset
.endm

.macro _ds_load_b64 dst src offset
    ds_read_b64 \dst \src \offset
.endm

.macro _ds_load_b128 dst src offset
    ds_read_b128 \dst \src \offset
.endm

.macro _ds_store_b8 dst src offset
    ds_write_b8 \dst \src \offset
.endm

.macro _ds_store_b8_d16_hi dst src offset
    ds_write_b8_d16_hi \dst \src \offset
.endm

.macro _ds_store_b16 dst src offset
    ds_write_b16 \dst \src \offset
.endm

.macro _ds_store_b16_d16_hi dst src offset
    ds_write_b16_d16_hi \dst \src \offset
.endm

.macro _ds_store_b32 dst src offset
    ds_write_b32 \dst \src \offset
.endm

.macro _ds_store_b64 dst src offset
    ds_write_b64 \dst \src \offset
.endm

.macro _ds_store_b128 dst src offset
    ds_write_b128 \dst \src \offset
.endm

.macro _ds_load2_b32 dst src offset1 offset2
    ds_read2_b32 \dst \src \offset1 \offset2
.endm

.macro _ds_load2_b64 dst src offset1 offset2
    ds_read2_b64 \dst \src \offset1 \offset2
.endm

.macro _ds_store2_b32 dst src offset1 offset2
    ds_write2_b32 \dst \src \offset1 \offset2
.endm

.macro _ds_store2_b64 dst src offset1 offset2
    ds_write2_b64 \dst \src \offset1 \offset2
.endm


/* buffer memory operation macros */
.macro _buffer_load_b32 dst voffset base soffset offen ioffset md0 md1 md2
    buffer_load_dword \dst \voffset \base \soffset \offen \ioffset \md0 \md1 \md2
.endm

.macro _buffer_load_b64 dst voffset base soffset offen ioffset md0 md1 md2
    buffer_load_dwordx2 \dst \voffset \base \soffset \offen \ioffset \md0 \md1 \md2
.endm

.macro _buffer_load_b96 dst voffset base soffset offen ioffset md0 md1 md2
    buffer_load_dwordx3 \dst \voffset \base \soffset \offen \ioffset \md0 \md1 \md2
.endm

.macro _buffer_load_b128 dst voffset base soffset offen ioffset md0 md1 md2
    buffer_load_dwordx4 \dst \voffset \base \soffset \offen \ioffset \md0 \md1 \md2
.endm

.macro _buffer_load_d16_b16 dst voffset base soffset offen ioffset md0 md1 md2
    buffer_load_short_d16 \dst \voffset \base \soffset \offen \ioffset \md0 \md1 \md2
.endm

.macro _buffer_load_d16_hi_b16 dst voffset base soffset offen ioffset md0 md1 md2
    buffer_load_short_d16_hi \dst \voffset \base \soffset \offen \ioffset \md0 \md1 \md2
.endm

.macro _buffer_load_d16_u8 dst voffset base soffset offen ioffset md0 md1 md2
    buffer_load_ubyte_d16 \dst \voffset \base \soffset \offen \ioffset \md0 \md1 \md2
.endm

.macro _buffer_load_d16_hi_u8 dst voffset base soffset offen ioffset md0 md1 md2
    buffer_load_ubyte_d16_hi \dst \voffset \base \soffset \offen \ioffset \md0 \md1 \md2
.endm

.macro _buffer_load_u16 dst voffset base soffset offen ioffset md0 md1 md2
    buffer_load_ushort \dst \voffset \base \soffset \offen \ioffset \md0 \md1 \md2
.endm

.macro _buffer_load_b32_dtl voffset base soffset offen ioffset md0 md1 md2
    buffer_load_dword \voffset \base \soffset \offen \ioffset \md0 \md1 \md2
.endm

.macro _buffer_load_b64_dtl voffset base soffset offen ioffset md0 md1 md2
    buffer_load_dwordx2 \voffset \base \soffset \offen \ioffset \md0 \md1 \md2
.endm

.macro _buffer_load_b128_dtl voffset base soffset offen ioffset md0 md1 md2
    buffer_load_dwordx4 \voffset \base \soffset \offen \ioffset \md0 \md1 \md2
.endm

.macro _buffer_load_u16_dtl voffset base soffset offen ioffset md0 md1 md2
    buffer_load_ushort \voffset \base \soffset \offen \ioffset \md0 \md1 \md2
.endm

.macro _buffer_store_b32 src voffset base soffset offen ioffset md0 md1 md2
    buffer_store_dword \src \voffset \base \soffset \offen \ioffset \md0 \md1 \md2
.endm

.macro _buffer_store_b64 src voffset base soffset offen ioffset md0 md1 md2
    buffer_store_dwordx2 \src \voffset \base \soffset \offen \ioffset \md0 \md1 \md2
.endm

.macro _buffer_store_b96 src voffset base soffset offen ioffset md0 md1 md2
    buffer_store_dwordx3 \src \voffset \base \soffset \offen \ioffset \md0 \md1 \md2
.endm

.macro _buffer_store_b128 src voffset base soffset offen ioffset md0 md1 md2
    buffer_store_dwordx4 \src \voffset \base \soffset \offen \ioffset \md0 \md1 \md2
.endm

.macro _buffer_store_b16 src voffset base soffset offen ioffset md0 md1 md2
    buffer_store_short \src \voffset \base \soffset \offen \ioffset \md0 \md1 \md2
.endm

.macro _buffer_store_d16_hi_b16 src voffset base soffset offen ioffset md0 md1 md2
    buffer_store_short_d16_hi \src \voffset \base \soffset \offen \ioffset \md0 \md1 \md2
.endm

.macro _buffer_store_b8 src voffset base soffset offen ioffset md0 md1 md2
    buffer_store_byte \src \voffset \base \soffset \offen \ioffset \md0 \md1 \md2
.endm

.macro _buffer_store_d16_hi_b8 src voffset base soffset offen ioffset md0 md1 md2
    buffer_store_byte_d16_hi \src \voffset \base \soffset \offen \ioffset \md0 \md1 \md2
.endm

.macro _buffer_atomic_cmpswap_b32 dst voffset base soffset offen ioffset md0 md1 md2
    buffer_atomic_cmpswap \dst \voffset \base \soffset \offen \ioffset \md0 \md1 \md2
.endm

.macro _buffer_atomic_cmpswap_b64 dst voffset base soffset offen ioffset md0 md1 md2
    buffer_atomic_cmpswap_x2 \dst \voffset \base \soffset \offen \ioffset \md0 \md1 \md2
.endm


/* buffer memory operation macros */
.macro _global_load_b32 dst base src ioffset md0 md1 md2
    global_load_dword \dst \base \src \ioffset \md0 \md1 \md2
.endm

.macro _global_load_b64 dst base src ioffset md0 md1 md2
    global_load_dwordx2 \dst \base \src \ioffset \md0 \md1 \md2
.endm

.macro _global_load_b96 dst base src ioffset md0 md1 md2
    global_load_dwordx3 \dst \base \src \ioffset \md0 \md1 \md2
.endm

.macro _global_load_b128 dst base src ioffset md0 md1 md2
    global_load_dwordx4 \dst \base \src \ioffset \md0 \md1 \md2
.endm

.macro _global_load_d16_b16 dst base src ioffset md0 md1 md2
    global_load_short_d16 \dst \base \src \ioffset \md0 \md1 \md2
.endm

.macro _global_load_d16_hi_b16 dst base src ioffset md0 md1 md2
    global_load_short_d16_hi \dst \base \src \ioffset \md0 \md1 \md2
.endm

.macro _global_load_d16_u8 dst base src ioffset md0 md1 md2
    global_load_ubyte_d16 \dst \base \src \ioffset \md0 \md1 \md2
.endm

.macro _global_load_d16_hi_u8 dst base src ioffset md0 md1 md2
    global_load_ubyte_d16_hi \dst \base \src \ioffset \md0 \md1 \md2
.endm

.macro _global_load_u16 dst base src ioffset md0 md1 md2
    global_load_ushort \dst \base \src \ioffset \md0 \md1 \md2
.endm

.macro _global_store_b32 base src src2 md0 md1 md2
    global_store_dword \base \src \src2 \md0 \md1 \md2
.endm

.macro _global_store_b64 base src src2 md0 md1 md2
    global_store_dwordx2 \base \src \src2 \md0 \md1 \md2
.endm

.macro _global_store_b96 base src src2 md0 md1 md2
    global_store_dwordx3 \base \src \src2 \md0 \md1 \md2
.endm

.macro _global_store_b128 base src src2 md0 md1 md2
    global_store_dwordx4 \base \src \src2 \md0 \md1 \md2
.endm

.macro _global_store_d16_b16 base src src2 md0 md1 md2
    global_store_short \base \src \src2 \md0 \md1 \md2
.endm

.macro _global_store_d16_hi_b16 base src src2 md0 md1 md2
    global_store_short_d16_hi \base \src \src2 \md0 \md1 \md2
.endm

.macro _global_store_d16_u8 base src src2 md0 md1 md2
    global_store_ubyte_d16 \base \src \src2 \md0 \md1 \md2
.endm

.macro _global_store_d16_hi_u8 base src src2 md0 md1 md2
    global_store_ubyte_d16_hi \base \src \src2 \md0 \md1 \md2
.endm

.macro _global_store_u16 base src src2 md0 md1 md2
    global_store_ushort \base \src \src2 \md0 \md1 \md2
.endm

.macro _global_atomic_cmpswap_b32 tmp base data src ioffset md
    global_atomic_cmpswap \tmp \base \data \src \ioffset \md
.endm

.macro _global_atomic_cmpswap_b64 tmp base data src ioffset md
    global_atomic_cmpswap_x2 \tmp \base \data \src \ioffset \md
.endm


/******************************************/
/* Magic div and mod functions            */
/******************************************/
.macro V_MAGIC_DIV dstIdx:req, dividend:req, magicNumber:req, magicShift:req, magicA:req
    v_mul_hi_u32 v[\dstIdx+1], \dividend, \magicNumber
    v_mul_lo_u32 v[\dstIdx+0], \dividend, \magicA
    _v_add_u32 v[\dstIdx+0], v[\dstIdx+0], v[\dstIdx+1]
    v_lshrrev_b32 v[\dstIdx+0], \magicShift, v[\dstIdx+0]
.endm

/******************************************/
/* VGPR Assignments                       */
/******************************************/
/* ValuC range: [0-0), serializedStore enabled */
.set vgprValuC, 0
/* ValuA/B   Xn=PLR buffer idx,  In=InnerUnroll idx */
.set vgprValuA_X0_I0, 0
.set vgprValuA_X1_I0, 0
.set vgprValuA_X0_I0_D0, 8
.set vgprValuA_X0_I0_D1, 10
.set vgprValuA_X0_I0_D2, 12
.set vgprValuA_X0_I0_D3, 14
.set vgprValuA_X1_I0_D0, 16
.set vgprValuA_X1_I0_D1, 18
.set vgprValuA_X1_I0_D2, 20
.set vgprValuA_X1_I0_D3, 22
.set vgprG2LA, 54
.set vgprValuB_X0_I0, 24
.set vgprValuB_X1_I0, 24
.set vgprValuB_X0_I0_D0, 32
.set vgprValuB_X0_I0_D1, 34
.set vgprValuB_X0_I0_D2, 36
.set vgprValuB_X0_I0_D3, 38
.set vgprValuB_X1_I0_D0, 40
.set vgprValuB_X1_I0_D1, 42
.set vgprValuB_X1_I0_D2, 44
.set vgprValuB_X1_I0_D3, 46
.set vgprG2LB, 62
.set vgprLocalWriteAddrA, 48
.set vgprLocalWriteAddrB, 49
.set vgprGlobalReadOffsetA, 50
.set vgprGlobalReadOffsetB, 52
.set vgprLocalReadAddrA, 70
.set vgprLocalReadAddrB, 71
.set vgprSerial, 72
/* Num VGPR=256 */
/* Num AccVGPR=64 */

/******************************************/
/* SGPR Assignments                       */
/******************************************/
.set sgprKernArgAddress, 0 // (2)
.set sgprWorkGroup0, 2 // (1)
.set sgprWorkGroup1, 3 // (1)
.set sgprWorkGroup2, 4 // (1)
.set sgprLoopCounterL, 5 // (1)
.set sgprOrigLoopCounter, 6 // (1)
.set sgprSrdA, 8 // (4)
.set sgprSrdB, 12 // (4)
.set sgprSrdD, 16 // (4)
.set sgprSrdC, 20 // (4)
.set sgprTensor2dSizeA, 24 // (2)
.set sgprTensor2dSizeB, 26 // (2)
.set sgprAddressD, 28 // (2)
.set sgprAddressC, 30 // (2)
.set sgprAddressA, 32 // (2)
.set sgprAddressB, 34 // (2)
.set sgprAlpha, 36 // (1)
.set sgprBeta, 37 // (1)
.set sgprStridesD, 38 // (2)
.set sgprStridesC, 40 // (2)
.set sgprStridesA, 42 // (2)
.set sgprStridesB, 44 // (2)
.set sgprSizesFree, 46 // (3)
.set sgprSizesSum, 49 // (1)
.set sgprOrigStaggerUIter, 50 // (1)
.set sgprNumWorkGroups0, 51 // (1)
.set sgprNumWorkGroups1, 52 // (1)
.set sgprShadowLimitA, 0 // (2)
.set sgprShadowLimitB, 28 // (2)
.set sgprStaggerUIter, 7 // (1)
.set sgprWrapUA, 30 // (2)
.set sgprWrapUB, 32 // (2)
.set sgprGlobalReadIncsA, 34 // (1)
.set sgprGlobalReadIncsB, 35 // (1)
.set sgprPackKForV0, 53 // (1)
.set sgprPackKForV1, 56 // (1)
/* max SGPR=62 */

/* Size Assignments */
.set sgprSizeI, sgprSizesFree+0
.set sgprSizeJ, sgprSizesFree+1
.set sgprSizeK, sgprSizesFree+2
.set sgprSizeL, sgprSizesSum+0

/* Stride Assignments */
.set constStrideD0I, 1
.set sgprStrideD1J, sgprStridesD+0
.set sgprStrideDK, sgprStridesD+1
.set constStrideC0I, 1
.set sgprStrideC1J, sgprStridesC+0
.set sgprStrideCK, sgprStridesC+1
.set constStrideA0I, 1
.set sgprStrideAL, sgprStridesA+0
.set sgprStrideAK, sgprStridesA+1
.set constStrideB1J, 1
.set sgprStrideBL, sgprStridesB+0
.set sgprStrideBK, sgprStridesB+1

.set MT0, 128
.set MT1, 128
.set DepthU, 32
.set GSU, 1
.set BpeA, 2
.set BpeALog2, 1
.set BpeB, 2
.set BpeBLog2, 1
/* Number of elements to shift-left SRD */
.set SrdShiftLeftA, 8
.set SrdShiftLeftB, 8
/* 2GB limit - set offsets to -1 to exceed this and clamp */
.set BufferLimitA, 0xffffffff
.set BufferLimitB, 0xffffffff
.set BufferOOB, 0xfffff000

/******************************************/
/* Bits 127:96 of SRD.                    */
/* hex: 0x00020000                        */
/* dst_sel_x (3b): 0                      */
/* dst_sel_y (3b): 0                      */
/* dst_sel_z (3b): 0                      */
/* dst_sel_w (3b): 0                      */
/* num_format (3b): 0                     */
/* data_format (4b): 4                    */
/* user_vm_enable (1b): 0                 */
/* user_vm_mode (1b): 0                   */
/* index_stride (2b): 0                   */
/* add_tid_enable (1b): 0                 */
/* _unusedA (3b): 0                       */
/* nv (1b): 0                             */
/* _unusedB (2b): 0                       */
/* type (2b): 0                           */
/******************************************/
.set Srd127_96, 0x00020000

/* Global Offset A */
.macro GLOBAL_OFFSET_A vgprAddr:req vgprOffset0I:req vgprOffsetL:req vgprTmp:req
v_mul_lo_u32 v[\vgprTmp+0], s[sgprStrideAL], v[\vgprOffsetL] // mul d1 lower
_v_add_co_u32 v[\vgprAddr+0], vcc, v[\vgprOffset0I], v[\vgprTmp+0] // accumulate K lower
_v_add_u32 v[\vgprAddr+0], 0x8, v[\vgprAddr+0]     // add prepad for pointer shift
v_lshlrev_b32 v[\vgprAddr+0], 0x1, v[\vgprAddr+0]  // offset *= bytes/element
.endm

/* Global Offset B */
.macro GLOBAL_OFFSET_B vgprAddr:req vgprOffset1J:req vgprOffsetL:req vgprTmp:req
v_mul_lo_u32 v[\vgprTmp+0], s[sgprStrideBL], v[\vgprOffsetL] // mul d1 lower
_v_add_co_u32 v[\vgprAddr+0], vcc, v[\vgprOffset1J], v[\vgprTmp+0] // accumulate K lower
_v_add_u32 v[\vgprAddr+0], 0x8, v[\vgprAddr+0]     // add prepad for pointer shift
v_lshlrev_b32 v[\vgprAddr+0], 0x1, v[\vgprAddr+0]  // offset *= bytes/element
.endm

/******************************************/
/* Dynamic Scalar Divide: vQuotient=vDividend/vDivisor; vRemainder=vDividend%vDivisor; */
/******************************************/
.macro DYNAMIC_VECTOR_DIVIDE vQuotient vRemainder vDividend vDivisor vTmp0 vTmp1 sTmp
v_cvt_f32_u32 v[\vQuotient], v[\vDivisor]          // 
v_rcp_f32 v[\vQuotient], v[\vQuotient]             // 
v_mul_f32 v[\vQuotient], 0x4f800000, v[\vQuotient] // 
v_cvt_u32_f32 v[\vQuotient], v[\vQuotient]         // 
v_mul_lo_u32 v[\vRemainder], v[\vDivisor], v[\vQuotient] // 
v_mul_hi_u32 v[\vTmp0], v[\vDivisor], v[\vQuotient] // 
_v_sub_co_u32 v[\vTmp1], vcc, 0x0, v[\vRemainder]  // 
v_cmp_ne_i32 s[\sTmp:\sTmp+1], 0x0, v[\vTmp0]      // 
v_cndmask_b32 v[\vRemainder], v[\vTmp1], v[\vRemainder], s[\sTmp:\sTmp+1] // 
v_mul_hi_u32 v[\vRemainder], v[\vRemainder], v[\vQuotient] // 
_v_sub_co_u32 v[\vTmp0], vcc, v[\vQuotient], v[\vRemainder] // 
_v_add_co_u32 v[\vQuotient], vcc, v[\vQuotient], v[\vRemainder] // 
v_cndmask_b32 v[\vQuotient], v[\vQuotient], v[\vTmp0], s[\sTmp:\sTmp+1] // 
v_mul_hi_u32 v[\vQuotient], v[\vQuotient], v[\vDividend] // 
v_mul_lo_u32 v[\vRemainder], v[\vQuotient], v[\vDivisor] // 
_v_sub_co_u32 v[\vTmp0], vcc, v[\vDividend], v[\vRemainder] // 
v_cmp_ge_u32 s[\sTmp:\sTmp+1], v[\vDividend], v[\vRemainder] // 
_v_add_co_u32 v[\vRemainder], vcc, 0x1, v[\vQuotient] // 
_v_add_co_u32 v[\vTmp1], vcc, -1, v[\vQuotient]    // 
v_cmp_le_u32 vcc, v[\vDivisor], v[\vTmp0]          // 
s_and_b64 vcc, s[\sTmp:\sTmp+1], vcc               // 
v_cndmask_b32 v[\vQuotient], v[\vQuotient], v[\vRemainder], vcc // 
v_cndmask_b32 v[\vQuotient], v[\vTmp1], v[\vQuotient], s[\sTmp:\sTmp+1] // 
v_cmp_ne_i32 vcc, 0x0, v[\vDivisor]                // 
v_cndmask_b32 v[\vQuotient], -1, v[\vQuotient], vcc // final result
v_mul_lo_u32 v[\vRemainder], v[\vQuotient], v[\vDivisor] // 
_v_sub_co_u32 v[\vRemainder], vcc, v[\vDividend], v[\vRemainder] // final result
.endm


	;; [unrolled: 1-line block ×3, first 2 shown]
/******************************************/
/* Allocate Resources                     */
/******************************************/

Cijk_Ailk_Bjlk_HHS_BH_MT128x128x32_MI16x16x16x1_SN_1LDSB0_APM1_AF0EM1_AF1EM1_AMAS3_ASE_ASGT3128_ASLT_ASM_ASAE01_ASCE01_ASEM1_BL1_BS1_CLR1_DTVA0_DTVB0_ETSP_EPS1_ELFLR4_EMLL0_FSSC10_FL0_GLVWA8_GLVWB8_GRCGA1_GRPM1_GRVW8_GSU1_GSUASB_GLS0_IU1_K1_LBSPPA0_LBSPPB1024_LPA0_LPB32_LRVW4_LWPMn1_MIAV0_MKFGSU256_NTA0_NTB0_NTC0_NTD0_NEPBS16_NLCA1_NLCB1_ONLL1_PGR2_PLR3_PKA0_SIA3_SLW1_SS1_SU8_SUM0_SUS128_SPO0_SRVW0_SSO4_SVW4_TSGRA0_TSGRB0_TT4_64_TLDS0_UMLDSA0_UMLDSB0_USFGROn1_VAW1_VSn1_VW4_VWB2_VFLRP1_WSGRA1_WSGRB0_WG32_8_1_WGM1_preloaded: // Kernel start when preloading

/* Load Kernel Args */
_s_load_b512 s[24:39], s[sgprKernArgAddress:sgprKernArgAddress+1], 0x0 // 
_s_load_b256 s[40:47], s[sgprKernArgAddress:sgprKernArgAddress+1], 0x40 // 
_s_load_b128 s[48:51], s[sgprKernArgAddress:sgprKernArgAddress+1], 0x60 // 
_s_load_b32 s52, s[sgprKernArgAddress:sgprKernArgAddress+1], 0x70 // 
s_mov_b32 m0, 0xc200                               // LDS clamp at 49664 bytes
v_mov_b32 v[vgprSerial], v0                        // thread serial id

/******************************************/
/* Local Read Addresses                   */
/******************************************/


/* local read addresses: tile assignments a/b */

/*lr0I*/
v_and_b32 v1, 63, v[vgprSerial]                    // 0. thread id in wave: wtid = tid % wavelength(64)
v_and_b32 v0, 15, v1                               // 1. N offset: nIdx = wtid % MI_N(16)
                                                   // 1. N offset: nOffset = nIdx * nStride(1) (multiplier is 1, do nothing)
                                                   // 2. block offset: bnIdx = bnIdx % num1DBlocks(1) is 0. do nothing
v_lshlrev_b32 v0, 0x2, v0                          // 4. apply VectorWidth: bnOffset = bnOffset * vw(4)
v_lshrrev_b32 v1, 4, v1                            // 5. K offset: kIdx = wtid / (MIN(16) * MIBB(1))
v_lshlrev_b32 v1, 0x9, v1                          // 5. K offset: lrKOffset = kIdx * mStride(512)
_v_add_u32 v0, v1, v0                              // 6. offset in wave: lrOffset = bnOffset + lrKOffset
v_lshrrev_b32 v2, 6, v[vgprSerial]                 // 7. wave offset in N dimen: wtid = tid / dividedForWaveId(64)
v_and_b32 v1, 1, v2                                // 7. wave offset in M dimen: wtid0 = wtid / num1DWaves(2)
v_lshlrev_b32 v1, 0x6, v1                          // 7. wave offset in M dimen: wOffset = wtid0 * W0Stride(64)
_v_add_u32 v0, v1, v0                              // 8. final local read offset: flrOffset = lrOffset + WOffset
/*lr1J*/
v_and_b32 v2, 63, v[vgprSerial]                    // 0. thread id in wave: wtid = tid % wavelength(64)
v_and_b32 v1, 15, v2                               // 1. N offset: nIdx = wtid % MI_N(16)
                                                   // 1. N offset: nOffset = nIdx * nStride(1) (multiplier is 1, do nothing)
                                                   // 2. block offset: bnIdx = bnIdx % num1DBlocks(1) is 0. do nothing
v_lshlrev_b32 v1, 0x1, v1                          // 4. apply VectorWidth: bnOffset = bnOffset * vw(2)
v_lshrrev_b32 v2, 4, v2                            // 5. K offset: kIdx = wtid / (MIN(16) * MIBB(1))
v_lshlrev_b32 v2, 0x9, v2                          // 5. K offset: lrKOffset = kIdx * mStride(512)
_v_add_u32 v1, v2, v1                              // 6. offset in wave: lrOffset = bnOffset + lrKOffset
v_lshrrev_b32 v3, 7, v[vgprSerial]                 // 7. wave offset in N dimen: wtid = tid / dividedForWaveId(128)
v_and_b32 v2, 1, v3                                // 7. wave offset in M dimen: wtid0 = wtid / num1DWaves(2)
v_lshlrev_b32 v2, 0x5, v2                          // 7. wave offset in M dimen: wOffset = wtid0 * W0Stride(32)
_v_add_u32 v1, v2, v1                              // 8. final local read offset: flrOffset = lrOffset + WOffset


/* local read addresses: final offsets a */

v_lshlrev_b32 v[vgprLocalReadAddrA], 0x1, v0       // Final Offset: offset = (lro0)*bpe


/* local read addresses: final offsets b */

v_lshlrev_b32 v[vgprLocalReadAddrB], 0x1, v1       // Final Offset: offset = (lro1)*bpe
v_lshrrev_b32 v0, 10, v[vgprLocalReadAddrB]        // Final Offset: padding 32 per block 1024
v_lshlrev_b32 v0, 0x6, v0                          // Final Offset: padding 32 per block 1024
_v_add_u32 v[vgprLocalReadAddrB], v0, v[vgprLocalReadAddrB] // Final Offset: add padding 32 per block 1024


/* local read addresses: declare addresses a */

/* N/A */


/* local read addresses: declare addresses b */

_v_add_co_u32 v[vgprLocalReadAddrB+0], vcc, 0x2000, v[vgprLocalReadAddrB+0] //  += LdsOffsetB (lower)


/* global read addresses: tile offset assignment a */

/* LVCA = 16 */
/* v0 = (local)groA-tile = serial%LVCA (note (wgA*MTA) will be added to SRD) */
/* v1 = groA-unroll = serial/LVCA */
v_and_b32 v2, 63, v[vgprSerial]                    // v2 = v[vgprSerial] % 64
v_lshrrev_b32 v1, 4, v2                            // v1 = v2 / 16
v_and_b32 v0, 15, v2                               // v0 = v2 % 16
v_readfirstlane_b32 s54, v[vgprSerial]             // WaveIdxWavefrontWidth
s_lshr_b32 s54, s54, 0x6                           // WaveId
s_mul_i32 s54, s54, 8                              // Global Read Wave: each wave loads continuous lsp(4)*nrp(2) columns
_v_add_u32 v1, s54, v1                             // Global Read Wave: add back to column index
/* gro-tile *= glvw */
v_lshlrev_b32 v0, 0x3, v0                          // v0 = v0 * 8


/* global read addresses: tile offset assignment b */

/* LVCB = 16 */
/* v2 = (local)groB-tile = serial%LVCB (note (wgB*MTB) will be added to SRD) */
/* v3 = groB-unroll = serial/LVCB */
v_lshrrev_b32 v3, 4, v[vgprSerial]                 // v3 = v[vgprSerial] / 16
v_and_b32 v2, 15, v[vgprSerial]                    // v2 = v[vgprSerial] % 16
/* gro-tile *= glvw */
v_lshlrev_b32 v2, 0x3, v2                          // v2 = v2 * 8


/******************************************/
/* Local Write Addresses                  */
/******************************************/

/* lwaTileAssignmentA = v0 */

/* lwaTileAssignmentB = v2 */

/* lwaUnrollAssignmentA = v1 */

/* lwaUnrollAssignmentB = v3 */


/* local write addresses: first offset a */

v_mul_u32_u24 v[vgprLocalWriteAddrA], 0x80, v1     // lwAL**(MTA + PAD)
_v_add_lshl_u32 v[vgprLocalWriteAddrA], v0, v[vgprLocalWriteAddrA], 0x1 // lwFOA = (lwAA + lwAL*(MT0I+PAD))*bpe


/* local write addresses: first offset b */

v_mul_u32_u24 v[vgprLocalWriteAddrB], 0x80, v3     // lwBL**(MTB + PAD)
_v_add_lshl_u32 v[vgprLocalWriteAddrB], v2, v[vgprLocalWriteAddrB], 0x1 // lwFOB = (lwBB + lwBL*(MT1J+PAD))*bpe
v_lshrrev_b32 v4, 10, v[vgprLocalWriteAddrB]       // padding 32 per block 1024
v_lshlrev_b32 v4, 0x6, v4                          // padding 32 per block 1024
_v_add_u32 v[vgprLocalWriteAddrB], v4, v[vgprLocalWriteAddrB] // add padding 32 per block 1024
_v_add_co_u32 v[vgprLocalWriteAddrB], vcc, 0x2000, v[vgprLocalWriteAddrB] // lwFOB = lwB1J + lwBL*MT1J + LDS_OFFSET_B=4096*2


	;; [unrolled: 1-line block ×7, first 2 shown]
s_waitcnt lgkmcnt(0)                               // wait for 116 bytes of kern args
s_mov_b64 s[sgprSrdC+0:sgprSrdC+0+1], s[sgprAddressC+0:sgprAddressC+0+1] // copy addressC
s_mov_b64 s[sgprSrdD+0:sgprSrdD+0+1], s[sgprAddressD+0:sgprAddressD+0+1] // copy addressD
s_sub_u32 s[sgprSrdA+0], s[sgprAddressA+0], 16     // pre-pad to make room for possible pointer shift
s_subb_u32 s[sgprSrdA+1], s[sgprAddressA+1], 0     // pre-pad to make room for possible pointer shift
s_sub_u32 s[sgprSrdB+0], s[sgprAddressB+0], 16     // pre-pad to make room for possible pointer shift
s_subb_u32 s[sgprSrdB+1], s[sgprAddressB+1], 0     // pre-pad to make room for possible pointer shift

.set AddressD, UNDEF
.set AddressC, UNDEF
.set AddressA, UNDEF
.set AddressB, UNDEF

/* Short circuit condition if Alpha == 0, then sumDims=0 */
v_cmp_eq_f32 vcc, s[sgprAlpha], 0.0                // Alpha == 0.0f ?
s_cbranch_vccz label_AlphaNonZero                  // branch if alpha != 0
s_mov_b32 s[sgprSizesSum+0], 0x0                   // Set summation dim=0 if Alpha == 0
label_AlphaNonZero:
s_mov_b32 s[sgprPackKForV0], 0x05040100            // half pack value 0 for v_perm_b32
s_mov_b32 s[sgprPackKForV1], 0x07060302            // half pack value 1 for v_perm_b32


	;; [unrolled: 1-line block ×3, first 2 shown]
/******************************************/
/* Begin setupNewTile, isPap=False           */
/******************************************/


/* global read addresses: work-group */

/* graWorkGroup mapping */


/* global read addresses: unroll assignment a */

/* v1 */


/* global read addresses: unroll assignment b */

/* v3 */


/* global read addresses: other free assignments */

/* s[sgprWorkGroup2] */


/* global read addresses: tile offsets a */

v_mov_b32 v4, v0                                   // groA0I_0


/* global read addresses: tile offsets b */

v_mov_b32 v5, v2                                   // groB1J_0


/* global read addresses: unroll offsets a */

v_mov_b32 v6, v1                                   // groAL_0
_v_add_co_u32 v7, vcc, 4, v6                       // groAL_1 + LSPA


/* global read addresses: unroll offsets b */

v_mov_b32 v8, v3                                   // groBL_0
_v_add_co_u32 v9, vcc, 16, v8                      // groBL_1 + LSPB


/* global read addresses: shift a */

s_mul_i32 s57, s[sgprWorkGroup0], 128              // WorkGroup[01] * MT
s_sub_u32 s57, s[sgprSizeI], s57                   // edge = Size0I - WG*MT
s_sub_u32 s57, s57, 8                              // edge -= margin(8)
v_mov_b32 v10, s57                                 // edge vgpr = Size0I- WG*MT - margin(8)
v_min_i32 v4, v10, v4                              // offset = (offset < edge) ? offset(v4) : edge(v10)


/* global read addresses: shift b */

s_mul_i32 s57, s[sgprWorkGroup1], 128              // WorkGroup[01] * MT
s_sub_u32 s57, s[sgprSizeJ], s57                   // edge = Size1J - WG*MT
s_sub_u32 s57, s57, 8                              // edge -= margin(8)
v_mov_b32 v10, s57                                 // edge vgpr = Size1J- WG*MT - margin(8)
v_min_i32 v5, v10, v5                              // offset = (offset < edge) ? offset(v5) : edge(v10)


/* global read addresses: final offsets a */

GLOBAL_OFFSET_A vgprGlobalReadOffsetA+0,  4,  6, 10 // gROA_0_0_0_0
GLOBAL_OFFSET_A vgprGlobalReadOffsetA+1,  4,  7, 10 // gROA_0_0_1_0


/* global read addresses: final offsets b */

GLOBAL_OFFSET_B vgprGlobalReadOffsetB+0,  5,  8, 10 // gROB_0_0_0_0
GLOBAL_OFFSET_B vgprGlobalReadOffsetB+1,  5,  9, 10 // gROB_0_0_1_0


/* global read addresses: addresses a */

/* max read offset = size[n] * stride[n-1] */
s_mul_hi_u32 s61, s[sgprWorkGroup0], 128           // WorkGroup[01] * MT
s_mul_i32 s60, s[sgprWorkGroup0], 128              // WorkGroup[01] * MT
s_sub_u32 s[sgprShadowLimitA+0], s[sgprTensor2dSizeA], s60 // sub tileStart
s_subb_u32 s[sgprShadowLimitA+1], s[sgprTensor2dSizeA+1], s61 // sub tileStart
s_lshl_b64 s[sgprShadowLimitA:sgprShadowLimitA+1], s[sgprShadowLimitA:sgprShadowLimitA+1], 0x1 // Set limit to use bytes
s_add_u32 s[sgprShadowLimitA+0], s[sgprShadowLimitA+0], 16 // extend limit for pre-pad
s_addc_u32 s[sgprShadowLimitA+1], s[sgprShadowLimitA+1], 0 // extend limit for pre-pad
s_cmp_eq_u32 s[sgprShadowLimitA+1], 0              // are we within 2^32?
s_cselect_b32 s[sgprSrdA+2], s[sgprShadowLimitA+0], BufferLimitA // Move shadow to real if we are within 2^32
s_mul_hi_u32 s59, s[sgprStrideAK], s[sgprWorkGroup2] // Stride*WG
s_mul_i32 s58, s[sgprStrideAK], s[sgprWorkGroup2]  // Stride*WG
s_add_u32 s60, s60, s58                            // accum wg term to tilestart
s_addc_u32 s61, s61, s59                           // accum wg term to tilestart
s_lshl_b64 s[60:61], s[60:61], 0x1                 // tileStart *= BPE
s_add_u32 s[sgprSrdA+0], s[sgprSrdA+0], s60        // SRD base = Address+ tileStart0
s_addc_u32 s[sgprSrdA+1], s[sgprSrdA+1], s61       // SRD base = Address+ tileStart1
s_mov_b32 s[sgprSrdA+3], Srd127_96                 // Set bits 127_96 in SRD


/* global read addresses: addresses b */

/* max read offset = size[n] * stride[n-1] */
s_mul_hi_u32 s61, s[sgprWorkGroup1], 128           // WorkGroup[01] * MT
s_mul_i32 s60, s[sgprWorkGroup1], 128              // WorkGroup[01] * MT
s_sub_u32 s[sgprShadowLimitB+0], s[sgprTensor2dSizeB], s60 // sub tileStart
s_subb_u32 s[sgprShadowLimitB+1], s[sgprTensor2dSizeB+1], s61 // sub tileStart
s_lshl_b64 s[sgprShadowLimitB:sgprShadowLimitB+1], s[sgprShadowLimitB:sgprShadowLimitB+1], 0x1 // Set limit to use bytes
s_add_u32 s[sgprShadowLimitB+0], s[sgprShadowLimitB+0], 16 // extend limit for pre-pad
s_addc_u32 s[sgprShadowLimitB+1], s[sgprShadowLimitB+1], 0 // extend limit for pre-pad
s_cmp_eq_u32 s[sgprShadowLimitB+1], 0              // are we within 2^32?
s_cselect_b32 s[sgprSrdB+2], s[sgprShadowLimitB+0], BufferLimitB // Move shadow to real if we are within 2^32
s_mul_hi_u32 s59, s[sgprStrideBK], s[sgprWorkGroup2] // Stride*WG
s_mul_i32 s58, s[sgprStrideBK], s[sgprWorkGroup2]  // Stride*WG
s_add_u32 s60, s60, s58                            // accum wg term to tilestart
s_addc_u32 s61, s61, s59                           // accum wg term to tilestart
s_lshl_b64 s[60:61], s[60:61], 0x1                 // tileStart *= BPE
s_add_u32 s[sgprSrdB+0], s[sgprSrdB+0], s60        // SRD base = Address+ tileStart0
s_addc_u32 s[sgprSrdB+1], s[sgprSrdB+1], s61       // SRD base = Address+ tileStart1
s_mov_b32 s[sgprSrdB+3], Srd127_96                 // Set bits 127_96 in SRD


/* global read addresses: increments a */

s_mul_i32 s[sgprGlobalReadIncsA+0], DepthU*BpeA, s[sgprStrideAL] // incrA unrollIdx)


/* global read addresses: increments b */

s_mul_i32 s[sgprGlobalReadIncsB+0], DepthU*BpeB, s[sgprStrideBL] // incrB unrollIdx)

/* declare loop num iterations */


s_lshr_b32 s[sgprLoopCounterL], s[sgprSizesSum+0], 5 // s[sgprLoopCounterL] = s[sgprSizesSum+0] / 32
s_mov_b32 s[sgprOrigLoopCounter], s[sgprLoopCounterL] // copy loop counter

s_and_b32 s[sgprStaggerUIter], s[sgprOrigStaggerUIter], s[sgprWorkGroup0] // Compute actual stagger start for this tile
s_lshl_b32 s[sgprStaggerUIter], s[sgprStaggerUIter], 1 // shift by StaggerUStride


/* SRDs += (StaggerUIter) * GlobalReadIncsA+0 */
s_mul_hi_u32 s59, s[sgprStaggerUIter], s[sgprGlobalReadIncsA+0] //  stagger byte offset
s_mul_i32 s58, s[sgprStaggerUIter], s[sgprGlobalReadIncsA+0] //  stagger byte offset
s_mul_hi_u32 s[sgprWrapUA+1], s[sgprLoopCounterL], s[sgprGlobalReadIncsA+0] // Number of bytes accessed by the unroll loop
s_mul_i32 s[sgprWrapUA+0], s[sgprLoopCounterL], s[sgprGlobalReadIncsA+0] // Number of bytes accessed by the unroll loop
s_sub_u32 s[sgprWrapUA+0], s[sgprGlobalReadIncsA+0], s[sgprWrapUA+0] // remove one iteration
s_subb_u32 s[sgprWrapUA+1], 0, s[sgprWrapUA+1]     // remove one iteration
s_add_u32 s[sgprSrdA+0], s[sgprSrdA+0], s58        // gra SRD += inc(lower)
s_addc_u32  s[sgprSrdA+1], s[sgprSrdA+1], s59      // gra SRD += inc(upper)
s_sub_u32 s[sgprShadowLimitA+0], s[sgprShadowLimitA+0], s58 // limit -= inc)
s_subb_u32 s[sgprShadowLimitA+1], s[sgprShadowLimitA+1], s59 // limit -= inc)
s_cmp_eq_u32 s[sgprShadowLimitA+1], 0              // are we within 2^32?
s_cselect_b32 s[sgprSrdA+2], s[sgprShadowLimitA+0], BufferLimitA // Move shadow to real if we are within 2^32


/* SRDs += (StaggerUIter) * GlobalReadIncsB+0 */
s_mul_hi_u32 s59, s[sgprStaggerUIter], s[sgprGlobalReadIncsB+0] //  stagger byte offset
s_mul_i32 s58, s[sgprStaggerUIter], s[sgprGlobalReadIncsB+0] //  stagger byte offset
s_mul_hi_u32 s[sgprWrapUB+1], s[sgprLoopCounterL], s[sgprGlobalReadIncsB+0] // Number of bytes accessed by the unroll loop
s_mul_i32 s[sgprWrapUB+0], s[sgprLoopCounterL], s[sgprGlobalReadIncsB+0] // Number of bytes accessed by the unroll loop
s_sub_u32 s[sgprWrapUB+0], s[sgprGlobalReadIncsB+0], s[sgprWrapUB+0] // remove one iteration
s_subb_u32 s[sgprWrapUB+1], 0, s[sgprWrapUB+1]     // remove one iteration
s_add_u32 s[sgprSrdB+0], s[sgprSrdB+0], s58        // gra SRD += inc(lower)
s_addc_u32  s[sgprSrdB+1], s[sgprSrdB+1], s59      // gra SRD += inc(upper)
s_sub_u32 s[sgprShadowLimitB+0], s[sgprShadowLimitB+0], s58 // limit -= inc)
s_subb_u32 s[sgprShadowLimitB+1], s[sgprShadowLimitB+1], s59 // limit -= inc)
s_cmp_eq_u32 s[sgprShadowLimitB+1], 0              // are we within 2^32?
s_cselect_b32 s[sgprSrdB+2], s[sgprShadowLimitB+0], BufferLimitB // Move shadow to real if we are within 2^32
s_add_u32 s[sgprStaggerUIter], s[sgprStaggerUIter], 2 // Subtract (PGR-1); StaggerUIter now contains target iteration to wrap

/* local read addresses: init pointers a */


/* localReadInitPointers */

/* local read addresses: init pointers b */


/* localReadInitPointers */


/* prefetch: global -> local */

s_cmp_eq_u32 s[sgprLoopCounterL], 0                // at last iteration?
s_cbranch_scc1 ShadowInitStart_10                  // skip to ShadowInitStart iter b/c numIter==0


_buffer_load_b128 v[vgprG2LA+0:vgprG2LA+0+3], v[vgprGlobalReadOffsetA+0], s[sgprSrdA:sgprSrdA+3], 0, offen offset:0 // G -> Reg 0_0_0_0
_buffer_load_b128 v[vgprG2LA+4:vgprG2LA+4+3], v[vgprGlobalReadOffsetA+1], s[sgprSrdA:sgprSrdA+3], 0, offen offset:0 // G -> Reg 0_0_1_0


_buffer_load_b128 v[vgprG2LB+0:vgprG2LB+0+3], v[vgprGlobalReadOffsetB+0], s[sgprSrdB:sgprSrdB+3], 0, offen offset:0 // G -> Reg 0_0_0_0
_buffer_load_b128 v[vgprG2LB+4:vgprG2LB+4+3], v[vgprGlobalReadOffsetB+1], s[sgprSrdB:sgprSrdB+3], 0, offen offset:0 // G -> Reg 0_0_1_0


/* global read inc A loopL */
s_add_u32 s60, s[sgprLoopCounterL], 1              // remove pf(1)
s_cmp_eq_u32 s[sgprStaggerUIter], s60              // Is this wrapIter? (pf)
s_cselect_b32 s58, s[sgprWrapUA+0], s[sgprGlobalReadIncsA+0] // incLower <- ?
s_cselect_b32 s59, s[sgprWrapUA+1], 0              // incUpper <- ?
s_add_u32 s[sgprSrdA+0], s[sgprSrdA+0], s58        // gra SRD += inc(lower)
s_addc_u32  s[sgprSrdA+1], s[sgprSrdA+1], s59      // gra SRD += inc(upper)
s_sub_u32 s[sgprShadowLimitA+0], s[sgprShadowLimitA+0], s58 // limit -= inc)
s_subb_u32 s[sgprShadowLimitA+1], s[sgprShadowLimitA+1], s59 // limit -= inc)
s_cmp_eq_u32 s[sgprShadowLimitA+1], 0              // are we within 2^32?
s_cselect_b32 s[sgprSrdA+2], s[sgprShadowLimitA+0], BufferLimitA // Move shadow to real if we are within 2^32

/* global read inc B loopL */
s_add_u32 s60, s[sgprLoopCounterL], 1              // remove pf(1)
s_cmp_eq_u32 s[sgprStaggerUIter], s60              // Is this wrapIter? (pf)
s_cselect_b32 s58, s[sgprWrapUB+0], s[sgprGlobalReadIncsB+0] // incLower <- ?
s_cselect_b32 s59, s[sgprWrapUB+1], 0              // incUpper <- ?
s_add_u32 s[sgprSrdB+0], s[sgprSrdB+0], s58        // gra SRD += inc(lower)
s_addc_u32  s[sgprSrdB+1], s[sgprSrdB+1], s59      // gra SRD += inc(upper)
s_sub_u32 s[sgprShadowLimitB+0], s[sgprShadowLimitB+0], s58 // limit -= inc)
s_subb_u32 s[sgprShadowLimitB+1], s[sgprShadowLimitB+1], s59 // limit -= inc)
s_cmp_eq_u32 s[sgprShadowLimitB+1], 0              // are we within 2^32?
s_cselect_b32 s[sgprSrdB+2], s[sgprShadowLimitB+0], BufferLimitB // Move shadow to real if we are within 2^32


/******************************************/
/* End setupNewTile, isPap=False             */
/******************************************/

ShadowInitStart_10: // 

s_mov_b32 s[sgprSrdD+2], BufferOOB                 // 
s_mov_b32 s[sgprSrdD+3], Srd127_96                 // Set bits 127_96 in post-loop SRD

s_mov_b32 s[sgprSrdC+2], BufferOOB                 // 
s_mov_b32 s[sgprSrdC+3], Srd127_96                 // Set bits 127_96 in post-loop SRD


s_mul_i32 s60, MT1, s[sgprWorkGroup1]              // <- wg1*MT1
s_mul_hi_u32 s59, s60, s[sgprStrideC1J]            // CScale s60 by Stride
s_mul_i32 s58, s60, s[sgprStrideC1J]               // CScale s60 by Stride
s_lshl_b64 s[58:59], s[58:59], 1                   // scale by bpe
s_add_u32 s[sgprSrdC+0], s[sgprSrdC+0], s58        // add lo to SRD
s_addc_u32 s[sgprSrdC+1], s[sgprSrdC+1], s59       // add hi to SRD
s_mul_hi_u32 s59, s60, s[sgprStrideD1J]            // Scale s60 by Stride
s_mul_i32 s58, s60, s[sgprStrideD1J]               // Scale s60 by Stride
s_lshl_b64 s[58:59], s[58:59], 1                   // scale by bpe
s_add_u32 s[sgprSrdD+0], s[sgprSrdD+0], s58        // add lo to SRD
s_addc_u32 s[sgprSrdD+1], s[sgprSrdD+1], s59       // add hi to SRD

s_mul_hi_u32 s59, s[sgprWorkGroup2], s[sgprStrideCK] // CScale s[sgprWorkGroup2] by Stride
s_mul_i32 s58, s[sgprWorkGroup2], s[sgprStrideCK]  // CScale s[sgprWorkGroup2] by Stride
s_lshl_b64 s[58:59], s[58:59], 1                   // scale by bpe
s_add_u32 s[sgprSrdC+0], s[sgprSrdC+0], s58        // add lo to SRD
s_addc_u32 s[sgprSrdC+1], s[sgprSrdC+1], s59       // add hi to SRD
s_mul_hi_u32 s59, s[sgprWorkGroup2], s[sgprStrideDK] // Scale s[sgprWorkGroup2] by Stride
s_mul_i32 s58, s[sgprWorkGroup2], s[sgprStrideDK]  // Scale s[sgprWorkGroup2] by Stride
s_lshl_b64 s[58:59], s[58:59], 1                   // scale by bpe
s_add_u32 s[sgprSrdD+0], s[sgprSrdD+0], s58        // add lo to SRD
s_addc_u32 s[sgprSrdD+1], s[sgprSrdD+1], s59       // add hi to SRD


	;; [unrolled: 1-line block ×3, first 2 shown]
/* initC: remove C-tile 0-0 from pool */

/* initC: remove AB-tile 0-48 from pool */
v_accvgpr_write acc0, 0x0                          // initC
v_accvgpr_write acc1, 0x0                          // initC
v_accvgpr_write acc2, 0x0                          // initC
v_accvgpr_write acc3, 0x0                          // initC
v_accvgpr_write acc4, 0x0                          // initC
v_accvgpr_write acc5, 0x0                          // initC
v_accvgpr_write acc6, 0x0                          // initC
v_accvgpr_write acc7, 0x0                          // initC
v_accvgpr_write acc8, 0x0                          // initC
v_accvgpr_write acc9, 0x0                          // initC
v_accvgpr_write acc10, 0x0                         // initC
v_accvgpr_write acc11, 0x0                         // initC
v_accvgpr_write acc12, 0x0                         // initC
v_accvgpr_write acc13, 0x0                         // initC
v_accvgpr_write acc14, 0x0                         // initC
v_accvgpr_write acc15, 0x0                         // initC
v_accvgpr_write acc16, 0x0                         // initC
v_accvgpr_write acc17, 0x0                         // initC
v_accvgpr_write acc18, 0x0                         // initC
v_accvgpr_write acc19, 0x0                         // initC
v_accvgpr_write acc20, 0x0                         // initC
v_accvgpr_write acc21, 0x0                         // initC
v_accvgpr_write acc22, 0x0                         // initC
v_accvgpr_write acc23, 0x0                         // initC
v_accvgpr_write acc24, 0x0                         // initC
v_accvgpr_write acc25, 0x0                         // initC
v_accvgpr_write acc26, 0x0                         // initC
v_accvgpr_write acc27, 0x0                         // initC
v_accvgpr_write acc28, 0x0                         // initC
v_accvgpr_write acc29, 0x0                         // initC
v_accvgpr_write acc30, 0x0                         // initC
v_accvgpr_write acc31, 0x0                         // initC
v_accvgpr_write acc32, 0x0                         // initC
v_accvgpr_write acc33, 0x0                         // initC
v_accvgpr_write acc34, 0x0                         // initC
v_accvgpr_write acc35, 0x0                         // initC
v_accvgpr_write acc36, 0x0                         // initC
v_accvgpr_write acc37, 0x0                         // initC
v_accvgpr_write acc38, 0x0                         // initC
v_accvgpr_write acc39, 0x0                         // initC
v_accvgpr_write acc40, 0x0                         // initC
v_accvgpr_write acc41, 0x0                         // initC
v_accvgpr_write acc42, 0x0                         // initC
v_accvgpr_write acc43, 0x0                         // initC
v_accvgpr_write acc44, 0x0                         // initC
v_accvgpr_write acc45, 0x0                         // initC
v_accvgpr_write acc46, 0x0                         // initC
v_accvgpr_write acc47, 0x0                         // initC
v_accvgpr_write acc48, 0x0                         // initC
v_accvgpr_write acc49, 0x0                         // initC
v_accvgpr_write acc50, 0x0                         // initC
v_accvgpr_write acc51, 0x0                         // initC
v_accvgpr_write acc52, 0x0                         // initC
v_accvgpr_write acc53, 0x0                         // initC
v_accvgpr_write acc54, 0x0                         // initC
v_accvgpr_write acc55, 0x0                         // initC
v_accvgpr_write acc56, 0x0                         // initC
v_accvgpr_write acc57, 0x0                         // initC
v_accvgpr_write acc58, 0x0                         // initC
v_accvgpr_write acc59, 0x0                         // initC
v_accvgpr_write acc60, 0x0                         // initC
v_accvgpr_write acc61, 0x0                         // initC
v_accvgpr_write acc62, 0x0                         // initC
v_accvgpr_write acc63, 0x0                         // initC

s_cmp_eq_u32 s[sgprLoopCounterL], 0                // at last iteration?

/* after InitC, skip to end of prefetch last iter if numIter==0 */
s_cbranch_scc0 label_NoBranch_11                   // Only branch on scc1
s_getpc_B64 s[58:59]                               // addr of next instr
s_add_i32 s60, PrefetchGlobalLastIterEnd_5, 0x4    // target branch offset
s_add_u32 s58, s58, s60                            // add target branch offset
s_addc_u32 s59, s59, 0                             // add high and carry
s_setpc_b64 s[58:59]                               // branch to PrefetchGlobalLastIterEnd_5
label_NoBranch_11:

s_waitcnt vmcnt(0)                                 // lgkmcnt=-1 vmcnt=0 8wait for global read


/* local write a */
_ds_store_b128 v[vgprLocalWriteAddrA], v[vgprG2LA+0:vgprG2LA+0+3] offset:0 // lwoA_0_0_0_0 = (0*LSCA) + (0*LSPA)(*MT0I+PAD) = 0
_ds_store_b128 v[vgprLocalWriteAddrA], v[vgprG2LA+4:vgprG2LA+4+3] offset:1024 // lwoA_0_0_1_0 = (0*LSCA) + (1*LSPA)(*MT0I+PAD) = 1024

/* local write b */
_ds_store_b128 v[vgprLocalWriteAddrB], v[vgprG2LB+0:vgprG2LB+0+3] offset:0 // lwoB_0_0_0_0 = (0*LSCB) + (0*LSPB)(*MT1J+PAD) = 0
_ds_store_b128 v[vgprLocalWriteAddrB], v[vgprG2LB+4:vgprG2LB+4+3] offset:4352 // lwoB_0_0_1_0 = (0*LSCB) + (1*LSPB)(*MT1J+PAD) = 4352


/* local write swap a */


/* (EPS=1) local write swap internal offset -> 32768 */


/* local write swap b */


/* (EPS=1) local write swap internal offset -> 32768 */


	;; [unrolled: 1-line block ×3, first 2 shown]
s_cmp_eq_u32 s[sgprLoopCounterL] 0x1               // PGR=2 but only 1 loop
s_cbranch_scc1 label_0012                          // PGR=2 but only 1 loop


_buffer_load_b128 v[vgprG2LA+0:vgprG2LA+0+3], v[vgprGlobalReadOffsetA+0], s[sgprSrdA:sgprSrdA+3], 0, offen offset:0 // G -> Reg 0_0_0_0
_buffer_load_b128 v[vgprG2LA+4:vgprG2LA+4+3], v[vgprGlobalReadOffsetA+1], s[sgprSrdA:sgprSrdA+3], 0, offen offset:0 // G -> Reg 0_0_1_0


_buffer_load_b128 v[vgprG2LB+0:vgprG2LB+0+3], v[vgprGlobalReadOffsetB+0], s[sgprSrdB:sgprSrdB+3], 0, offen offset:0 // G -> Reg 0_0_0_0
_buffer_load_b128 v[vgprG2LB+4:vgprG2LB+4+3], v[vgprGlobalReadOffsetB+1], s[sgprSrdB:sgprSrdB+3], 0, offen offset:0 // G -> Reg 0_0_1_0

label_0012:                                        // 

s_waitcnt lgkmcnt(0)                               // lgkmcnt=0 vmcnt=-10prefetch wait for local write

// Skip force waitcnt0
s_barrier //


/* local read prefetch a */

_ds_load_b64 v[vgprValuA_X0_I0_D0+0:vgprValuA_X0_I0_D0+0+1], v[vgprLocalReadAddrA] offset:0 // L -> Reg lro=0 swapByteOffset=0 ti=128 vIdx=0 rIdx=0 oIdx=0 buffer=0 iui=0
_ds_load_b64 v[vgprValuA_X0_I0_D1+0:vgprValuA_X0_I0_D1+0+1], v[vgprLocalReadAddrA] offset:256 // L -> Reg lro=0 swapByteOffset=0 ti=128 vIdx=0 rIdx=1 oIdx=0 buffer=0 iui=0
_ds_load_b64 v[vgprValuA_X0_I0_D2+0:vgprValuA_X0_I0_D2+0+1], v[vgprLocalReadAddrA] offset:512 // L -> Reg lro=0 swapByteOffset=0 ti=128 vIdx=0 rIdx=2 oIdx=0 buffer=0 iui=0
_ds_load_b64 v[vgprValuA_X0_I0_D3+0:vgprValuA_X0_I0_D3+0+1], v[vgprLocalReadAddrA] offset:768 // L -> Reg lro=0 swapByteOffset=0 ti=128 vIdx=0 rIdx=3 oIdx=0 buffer=0 iui=0


/* local read prefetch b */

_ds_load_b32 v[vgprValuB_X0_I0_D0+0], v[vgprLocalReadAddrB] offset:0 // L -> Reg lro=0 swapByteOffset=0 ti=64 vIdx=0 rIdx=0 oIdx=0 buffer=0 iui=0
_ds_load_b32 v[vgprValuB_X0_I0_D1+0], v[vgprLocalReadAddrB] offset:256 // L -> Reg lro=0 swapByteOffset=0 ti=64 vIdx=0 rIdx=1 oIdx=0 buffer=0 iui=0
_ds_load_b32 v[vgprValuB_X0_I0_D2+0], v[vgprLocalReadAddrB] offset:512 // L -> Reg lro=0 swapByteOffset=0 ti=64 vIdx=0 rIdx=2 oIdx=0 buffer=0 iui=0
_ds_load_b32 v[vgprValuB_X0_I0_D3+0], v[vgprLocalReadAddrB] offset:768 // L -> Reg lro=0 swapByteOffset=0 ti=64 vIdx=0 rIdx=3 oIdx=0 buffer=0 iui=0
_ds_load_b32 v[vgprValuB_X0_I0_D0+1], v[vgprLocalReadAddrB] offset:128 // L -> Reg lro=0 swapByteOffset=0 ti=64 vIdx=1 rIdx=0 oIdx=0 buffer=0 iui=0
_ds_load_b32 v[vgprValuB_X0_I0_D1+1], v[vgprLocalReadAddrB] offset:384 // L -> Reg lro=0 swapByteOffset=0 ti=64 vIdx=1 rIdx=1 oIdx=0 buffer=0 iui=0
_ds_load_b32 v[vgprValuB_X0_I0_D2+1], v[vgprLocalReadAddrB] offset:640 // L -> Reg lro=0 swapByteOffset=0 ti=64 vIdx=1 rIdx=2 oIdx=0 buffer=0 iui=0
_ds_load_b32 v[vgprValuB_X0_I0_D3+1], v[vgprLocalReadAddrB] offset:896 // L -> Reg lro=0 swapByteOffset=0 ti=64 vIdx=1 rIdx=3 oIdx=0 buffer=0 iui=0


/* local read inc a */

/* N/A, lro->2048 */
/* self.localReadDoCntA 1 self.localReadDoCntB 1 */


/* local read inc b */

/* N/A, lro->2048 */
/* self.localReadDoCntA 1 self.localReadDoCntB 1 */


	;; [unrolled: 1-line block ×3, first 2 shown]
/******************************************/
/* Unrolled Loop(s) - Begin               */
/******************************************/

openLoopL_13:
s_cmp_eq_u32 s[sgprLoopCounterL], 0x1              // LoopCounterL < EndCounter
s_cbranch_scc1 label_0014                          // PGR=2 but only 1 loop, toPGR1
s_cmp_le_u32 s[sgprLoopCounterL], 0x2              // LoopCounterL < EndCounter
s_cbranch_scc1 LoopEndL_evenexit_4                 // do not enter LoopL
LoopBeginL_1:


/******************************************/
/* Unrolled Loop 1/2 - Begin              */
/******************************************/

label_0015: // LoopCopy1 


/* Begin Each Unroll: Check VGPR.checkin for INT8 LW */



/* iter 0 (reset local read pointers iteration)  (swap and reset local write pointers iteration)  (swap local read pointers iteration)  */

/*  grEndMfmaIndex:13, lwStartMfmaIndex:13, lwEndMfmaIndex:13  */
/*  numMfmaForLR:15, barrierMfmaIndex:16, LocalWritePerMfma:4.000 */
/*  mfmaIndex:0  */
s_waitcnt lgkmcnt(0)                               // lgkmcnt=0 vmcnt=-1wait for prior local read local write old=0, new=0 newLW=0 newLR=0
/* pack scheduling: packAIdx:2, packBIdx:2 */
v_perm_b32 v[vgprValuA_X0_I0+0], v[vgprValuA_X0_I0_D1+0], v[vgprValuA_X0_I0_D0+0], s[sgprPackKForV0] // select K=01 for vector=0
v_perm_b32 v[vgprValuA_X0_I0+1], v[vgprValuA_X0_I0_D3+0], v[vgprValuA_X0_I0_D2+0], s[sgprPackKForV0] // select K=23 for vector=0
v_perm_b32 v[vgprValuB_X0_I0+0], v[vgprValuB_X0_I0_D1+0], v[vgprValuB_X0_I0_D0+0], s[sgprPackKForV0] // select K=01 for vector=0
v_perm_b32 v[vgprValuB_X0_I0+1], v[vgprValuB_X0_I0_D3+0], v[vgprValuB_X0_I0_D2+0], s[sgprPackKForV0] // select K=23 for vector=0
v_perm_b32 v[vgprValuA_X0_I0+2], v[vgprValuA_X0_I0_D1+0], v[vgprValuA_X0_I0_D0+0], s[sgprPackKForV1] // select K=01 for vector=1
v_perm_b32 v[vgprValuA_X0_I0+3], v[vgprValuA_X0_I0_D3+0], v[vgprValuA_X0_I0_D2+0], s[sgprPackKForV1] // select K=23 for vector=1
v_mfma_f32_16x16x16_f16 a[0+0:3+0], v[vgprValuB_X0_I0+0+0+0:vgprValuB_X0_I0+0+0+0+1], v[vgprValuA_X0_I0+0+0+0:vgprValuA_X0_I0+0+0+0+1], a[0:3]
/*  mfmaIndex:1  */
_ds_load_b64 v[vgprValuA_X1_I0_D0+0:vgprValuA_X1_I0_D0+0+1], v[vgprLocalReadAddrA] offset:4096 // L -> Reg lro=2048 swapByteOffset=0 ti=128 vIdx=0 rIdx=0 oIdx=0 buffer=1 iui=0

/* global read inc A loopL */
s_cmp_eq_u32 s[sgprLoopCounterL], s[sgprStaggerUIter] // Is this the wrapIter?
/* pack scheduling: packAIdx:4, packBIdx:2 */
v_perm_b32 v[vgprValuA_X0_I0+4], v[vgprValuA_X0_I0_D1+1], v[vgprValuA_X0_I0_D0+1], s[sgprPackKForV0] // select K=01 for vector=0
v_perm_b32 v[vgprValuA_X0_I0+5], v[vgprValuA_X0_I0_D3+1], v[vgprValuA_X0_I0_D2+1], s[sgprPackKForV0] // select K=23 for vector=0
v_mfma_f32_16x16x16_f16 a[4+0:7+0], v[vgprValuB_X0_I0+0+0+0:vgprValuB_X0_I0+0+0+0+1], v[vgprValuA_X0_I0+2+0+0:vgprValuA_X0_I0+2+0+0+1], a[4:7]
/*  mfmaIndex:2  */
_ds_load_b64 v[vgprValuA_X1_I0_D1+0:vgprValuA_X1_I0_D1+0+1], v[vgprLocalReadAddrA] offset:4352 // L -> Reg lro=2048 swapByteOffset=0 ti=128 vIdx=0 rIdx=1 oIdx=0 buffer=1 iui=0
s_cselect_b32 s58, s[sgprWrapUA+0], s[sgprGlobalReadIncsA+0] // incLower <- ?
/* pack scheduling: packAIdx:6, packBIdx:2 */
v_perm_b32 v[vgprValuA_X0_I0+6], v[vgprValuA_X0_I0_D1+1], v[vgprValuA_X0_I0_D0+1], s[sgprPackKForV1] // select K=01 for vector=1
v_perm_b32 v[vgprValuA_X0_I0+7], v[vgprValuA_X0_I0_D3+1], v[vgprValuA_X0_I0_D2+1], s[sgprPackKForV1] // select K=23 for vector=1
v_mfma_f32_16x16x16_f16 a[8+0:11+0], v[vgprValuB_X0_I0+0+0+0:vgprValuB_X0_I0+0+0+0+1], v[vgprValuA_X0_I0+4+0+0:vgprValuA_X0_I0+4+0+0+1], a[8:11]
/*  mfmaIndex:3  */
_ds_load_b64 v[vgprValuA_X1_I0_D2+0:vgprValuA_X1_I0_D2+0+1], v[vgprLocalReadAddrA] offset:4608 // L -> Reg lro=2048 swapByteOffset=0 ti=128 vIdx=0 rIdx=2 oIdx=0 buffer=1 iui=0
s_cselect_b32 s59, s[sgprWrapUA+1], 0              // incUpper <- ?
/* pack scheduling: packAIdx:8, packBIdx:2 */
v_perm_b32 v[vgprValuB_X0_I0+2], v[vgprValuB_X0_I0_D1+0], v[vgprValuB_X0_I0_D0+0], s[sgprPackKForV1] // select K=01 for vector=1
v_perm_b32 v[vgprValuB_X0_I0+3], v[vgprValuB_X0_I0_D3+0], v[vgprValuB_X0_I0_D2+0], s[sgprPackKForV1] // select K=23 for vector=1
v_mfma_f32_16x16x16_f16 a[12+0:15+0], v[vgprValuB_X0_I0+0+0+0:vgprValuB_X0_I0+0+0+0+1], v[vgprValuA_X0_I0+6+0+0:vgprValuA_X0_I0+6+0+0+1], a[12:15]
/*  mfmaIndex:4  */
_ds_load_b64 v[vgprValuA_X1_I0_D3+0:vgprValuA_X1_I0_D3+0+1], v[vgprLocalReadAddrA] offset:4864 // L -> Reg lro=2048 swapByteOffset=0 ti=128 vIdx=0 rIdx=3 oIdx=0 buffer=1 iui=0
s_add_u32 s[sgprSrdA+0], s[sgprSrdA+0], s58        // gra SRD += inc(lower)
/* pack scheduling: packAIdx:8, packBIdx:4 */
v_perm_b32 v[vgprValuB_X0_I0+4], v[vgprValuB_X0_I0_D1+1], v[vgprValuB_X0_I0_D0+1], s[sgprPackKForV0] // select K=01 for vector=0
v_perm_b32 v[vgprValuB_X0_I0+5], v[vgprValuB_X0_I0_D3+1], v[vgprValuB_X0_I0_D2+1], s[sgprPackKForV0] // select K=23 for vector=0
v_mfma_f32_16x16x16_f16 a[28+0:31+0], v[vgprValuB_X0_I0+2+0+0:vgprValuB_X0_I0+2+0+0+1], v[vgprValuA_X0_I0+6+0+0:vgprValuA_X0_I0+6+0+0+1], a[28:31]
/*  mfmaIndex:5  */
_ds_load_b32 v[vgprValuB_X1_I0_D0+0], v[vgprLocalReadAddrB] offset:4352 // L -> Reg lro=2048 swapByteOffset=0 ti=64 vIdx=0 rIdx=0 oIdx=0 buffer=1 iui=0
s_addc_u32  s[sgprSrdA+1], s[sgprSrdA+1], s59      // gra SRD += inc(upper)
/* pack scheduling: packAIdx:8, packBIdx:4 */
v_perm_b32 v[vgprValuB_X0_I0+6], v[vgprValuB_X0_I0_D1+1], v[vgprValuB_X0_I0_D0+1], s[sgprPackKForV1] // select K=01 for vector=1
v_perm_b32 v[vgprValuB_X0_I0+7], v[vgprValuB_X0_I0_D3+1], v[vgprValuB_X0_I0_D2+1], s[sgprPackKForV1] // select K=23 for vector=1
v_mfma_f32_16x16x16_f16 a[24+0:27+0], v[vgprValuB_X0_I0+2+0+0:vgprValuB_X0_I0+2+0+0+1], v[vgprValuA_X0_I0+4+0+0:vgprValuA_X0_I0+4+0+0+1], a[24:27]
/*  mfmaIndex:6  */
_ds_load_b32 v[vgprValuB_X1_I0_D1+0], v[vgprLocalReadAddrB] offset:4608 // L -> Reg lro=2048 swapByteOffset=0 ti=64 vIdx=0 rIdx=1 oIdx=0 buffer=1 iui=0
s_sub_u32 s[sgprShadowLimitA+0], s[sgprShadowLimitA+0], s58 // limit -= inc)
v_mfma_f32_16x16x16_f16 a[20+0:23+0], v[vgprValuB_X0_I0+2+0+0:vgprValuB_X0_I0+2+0+0+1], v[vgprValuA_X0_I0+2+0+0:vgprValuA_X0_I0+2+0+0+1], a[20:23]
/*  mfmaIndex:7  */
_ds_load_b32 v[vgprValuB_X1_I0_D2+0], v[vgprLocalReadAddrB] offset:4864 // L -> Reg lro=2048 swapByteOffset=0 ti=64 vIdx=0 rIdx=2 oIdx=0 buffer=1 iui=0
s_subb_u32 s[sgprShadowLimitA+1], s[sgprShadowLimitA+1], s59 // limit -= inc)
v_mfma_f32_16x16x16_f16 a[16+0:19+0], v[vgprValuB_X0_I0+2+0+0:vgprValuB_X0_I0+2+0+0+1], v[vgprValuA_X0_I0+0+0+0:vgprValuA_X0_I0+0+0+0+1], a[16:19]
/*  mfmaIndex:8  */
_ds_load_b32 v[vgprValuB_X1_I0_D3+0], v[vgprLocalReadAddrB] offset:5120 // L -> Reg lro=2048 swapByteOffset=0 ti=64 vIdx=0 rIdx=3 oIdx=0 buffer=1 iui=0
s_cmp_eq_u32 s[sgprShadowLimitA+1], 0              // are we within 2^32?
v_mfma_f32_16x16x16_f16 a[32+0:35+0], v[vgprValuB_X0_I0+4+0+0:vgprValuB_X0_I0+4+0+0+1], v[vgprValuA_X0_I0+0+0+0:vgprValuA_X0_I0+0+0+0+1], a[32:35]
/*  mfmaIndex:9  */
_ds_load_b32 v[vgprValuB_X1_I0_D0+1], v[vgprLocalReadAddrB] offset:4480 // L -> Reg lro=2048 swapByteOffset=0 ti=64 vIdx=1 rIdx=0 oIdx=0 buffer=1 iui=0
s_cselect_b32 s[sgprSrdA+2], s[sgprShadowLimitA+0], BufferLimitA // Move shadow to real if we are within 2^32
v_mfma_f32_16x16x16_f16 a[36+0:39+0], v[vgprValuB_X0_I0+4+0+0:vgprValuB_X0_I0+4+0+0+1], v[vgprValuA_X0_I0+2+0+0:vgprValuA_X0_I0+2+0+0+1], a[36:39]
/*  mfmaIndex:10  */
_ds_load_b32 v[vgprValuB_X1_I0_D1+1], v[vgprLocalReadAddrB] offset:4736 // L -> Reg lro=2048 swapByteOffset=0 ti=64 vIdx=1 rIdx=1 oIdx=0 buffer=1 iui=0

/* global read inc B loopL */
s_cmp_eq_u32 s[sgprLoopCounterL], s[sgprStaggerUIter] // Is this the wrapIter?
v_mfma_f32_16x16x16_f16 a[40+0:43+0], v[vgprValuB_X0_I0+4+0+0:vgprValuB_X0_I0+4+0+0+1], v[vgprValuA_X0_I0+4+0+0:vgprValuA_X0_I0+4+0+0+1], a[40:43]
/*  mfmaIndex:11  */
_ds_load_b32 v[vgprValuB_X1_I0_D2+1], v[vgprLocalReadAddrB] offset:4992 // L -> Reg lro=2048 swapByteOffset=0 ti=64 vIdx=1 rIdx=2 oIdx=0 buffer=1 iui=0
s_cselect_b32 s58, s[sgprWrapUB+0], s[sgprGlobalReadIncsB+0] // incLower <- ?
v_mfma_f32_16x16x16_f16 a[44+0:47+0], v[vgprValuB_X0_I0+4+0+0:vgprValuB_X0_I0+4+0+0+1], v[vgprValuA_X0_I0+6+0+0:vgprValuA_X0_I0+6+0+0+1], a[44:47]
/*  mfmaIndex:12  */
_ds_load_b32 v[vgprValuB_X1_I0_D3+1], v[vgprLocalReadAddrB] offset:5248 // L -> Reg lro=2048 swapByteOffset=0 ti=64 vIdx=1 rIdx=3 oIdx=0 buffer=1 iui=0
s_cselect_b32 s59, s[sgprWrapUB+1], 0              // incUpper <- ?
v_mfma_f32_16x16x16_f16 a[60+0:63+0], v[vgprValuB_X0_I0+6+0+0:vgprValuB_X0_I0+6+0+0+1], v[vgprValuA_X0_I0+6+0+0:vgprValuA_X0_I0+6+0+0+1], a[60:63]
/*  mfmaIndex:13  */
s_add_u32 s[sgprSrdB+0], s[sgprSrdB+0], s58        // gra SRD += inc(lower)
s_addc_u32  s[sgprSrdB+1], s[sgprSrdB+1], s59      // gra SRD += inc(upper)
s_sub_u32 s[sgprShadowLimitB+0], s[sgprShadowLimitB+0], s58 // limit -= inc)
s_subb_u32 s[sgprShadowLimitB+1], s[sgprShadowLimitB+1], s59 // limit -= inc)
s_cmp_eq_u32 s[sgprShadowLimitB+1], 0              // are we within 2^32?
s_cselect_b32 s[sgprSrdB+2], s[sgprShadowLimitB+0], BufferLimitB // Move shadow to real if we are within 2^32
/* sched write - iter 0 writesPerItem=1 */
s_waitcnt vmcnt(0)                                 // lgkmcnt=-1 vmcnt=0wait for global read before writing to local
_ds_store_b128 v[vgprLocalWriteAddrA], v[vgprG2LA+0:vgprG2LA+0+3] offset:32768 // lwoA_0_0_0_0 = (0*LSCA) + (0*LSPA)(*MT0I+PAD) = 32768
_buffer_load_b128 v[vgprG2LA+0:vgprG2LA+0+3], v[vgprGlobalReadOffsetA+0], s[sgprSrdA:sgprSrdA+3], 0, offen offset:0 // G -> Reg 0_0_0_0
/* sched write - iter 0 writesPerItem=1 */
s_waitcnt vmcnt(0)                                 // lgkmcnt=-1 vmcnt=0wait for global read before writing to local
_ds_store_b128 v[vgprLocalWriteAddrA], v[vgprG2LA+4:vgprG2LA+4+3] offset:33792 // lwoA_0_0_1_0 = (0*LSCA) + (1*LSPA)(*MT0I+PAD) = 33792
_buffer_load_b128 v[vgprG2LA+4:vgprG2LA+4+3], v[vgprGlobalReadOffsetA+1], s[sgprSrdA:sgprSrdA+3], 0, offen offset:0 // G -> Reg 0_0_1_0
/* sched write - iter 0 writesPerItem=1 */
s_waitcnt vmcnt(0)                                 // lgkmcnt=-1 vmcnt=0wait for global read before writing to local
_ds_store_b128 v[vgprLocalWriteAddrB], v[vgprG2LB+0:vgprG2LB+0+3] offset:32768 // lwoB_0_0_0_0 = (0*LSCB) + (0*LSPB)(*MT1J+PAD) = 32768
_buffer_load_b128 v[vgprG2LB+0:vgprG2LB+0+3], v[vgprGlobalReadOffsetB+0], s[sgprSrdB:sgprSrdB+3], 0, offen offset:0 // G -> Reg 0_0_0_0
/* sched write - iter 0 writesPerItem=1 */
s_waitcnt vmcnt(0)                                 // lgkmcnt=-1 vmcnt=0wait for global read before writing to local
_ds_store_b128 v[vgprLocalWriteAddrB], v[vgprG2LB+4:vgprG2LB+4+3] offset:37120 // lwoB_0_0_1_0 = (0*LSCB) + (1*LSPB)(*MT1J+PAD) = 37120
_buffer_load_b128 v[vgprG2LB+4:vgprG2LB+4+3], v[vgprGlobalReadOffsetB+1], s[sgprSrdB:sgprSrdB+3], 0, offen offset:0 // G -> Reg 0_0_1_0

/* local write swap offsets a */

/* (EPS=1) local write swap internal offset -> 0 */

/* local write swap offsets b */

/* (EPS=1) local write swap internal offset -> 0 */
v_mfma_f32_16x16x16_f16 a[56+0:59+0], v[vgprValuB_X0_I0+6+0+0:vgprValuB_X0_I0+6+0+0+1], v[vgprValuA_X0_I0+4+0+0:vgprValuA_X0_I0+4+0+0+1], a[56:59]
/*  mfmaIndex:14  */
/* localReadsVacancy: latencyLeft 2 */
v_mfma_f32_16x16x16_f16 a[52+0:55+0], v[vgprValuB_X0_I0+6+0+0:vgprValuB_X0_I0+6+0+0+1], v[vgprValuA_X0_I0+2+0+0:vgprValuA_X0_I0+2+0+0+1], a[52:55]
/*  mfmaIndex:15  */
/* localReadsVacancy: latencyLeft 2 */

/* local read swap offsets a */

/* local read swap internal offset -> 32768 */

/* local read swap offsets b */

/* local read swap internal offset -> 32768 */

/* local read init pointers a */

/* localReadInitPointers */

/* local read init pointers b */

/* localReadInitPointers */
v_mfma_f32_16x16x16_f16 a[48+0:51+0], v[vgprValuB_X0_I0+6+0+0:vgprValuB_X0_I0+6+0+0+1], v[vgprValuA_X0_I0+0+0+0:vgprValuA_X0_I0+0+0+0+1], a[48:51]
/* numPrefetchIter=0 */
/* dataAtIterA=-1 numReadsIterA=1 skipReadsIterA=1 readsPerIterA=4 */
/* dataAtIterB=-1 numReadsIterB=1 skipReadsIterB=1 readsPerIterB=8 */


/* iter 1 */

/*  grEndMfmaIndex:13, lwStartMfmaIndex:13, lwEndMfmaIndex:13  */
/*  numMfmaForLR:15, barrierMfmaIndex:16, LocalWritePerMfma:4.000 */
/*  mfmaIndex:16  */
s_waitcnt lgkmcnt(0)                               // lgkmcnt=0 vmcnt=-13wait for local write
// Skip force waitcnt0
s_barrier //
s_waitcnt lgkmcnt(4)                               // lgkmcnt=0 vmcnt=-1wait for prior local read local write old=0, new=4 newLW=4 newLR=0
/* pack scheduling: packAIdx:2, packBIdx:2 */
v_perm_b32 v[vgprValuA_X1_I0+0], v[vgprValuA_X1_I0_D1+0], v[vgprValuA_X1_I0_D0+0], s[sgprPackKForV0] // select K=01 for vector=0
v_perm_b32 v[vgprValuA_X1_I0+1], v[vgprValuA_X1_I0_D3+0], v[vgprValuA_X1_I0_D2+0], s[sgprPackKForV0] // select K=23 for vector=0
v_perm_b32 v[vgprValuB_X1_I0+0], v[vgprValuB_X1_I0_D1+0], v[vgprValuB_X1_I0_D0+0], s[sgprPackKForV0] // select K=01 for vector=0
v_perm_b32 v[vgprValuB_X1_I0+1], v[vgprValuB_X1_I0_D3+0], v[vgprValuB_X1_I0_D2+0], s[sgprPackKForV0] // select K=23 for vector=0
v_perm_b32 v[vgprValuA_X1_I0+2], v[vgprValuA_X1_I0_D1+0], v[vgprValuA_X1_I0_D0+0], s[sgprPackKForV1] // select K=01 for vector=1
v_perm_b32 v[vgprValuA_X1_I0+3], v[vgprValuA_X1_I0_D3+0], v[vgprValuA_X1_I0_D2+0], s[sgprPackKForV1] // select K=23 for vector=1
v_mfma_f32_16x16x16_f16 a[0+0:3+0], v[vgprValuB_X1_I0+0+0+0:vgprValuB_X1_I0+0+0+0+1], v[vgprValuA_X1_I0+0+0+0:vgprValuA_X1_I0+0+0+0+1], a[0:3]
/*  mfmaIndex:17  */
_ds_load_b64 v[vgprValuA_X0_I0_D0+0:vgprValuA_X0_I0_D0+0+1], v[vgprLocalReadAddrA] offset:32768 // L -> Reg lro=0 swapByteOffset=32768 ti=128 vIdx=0 rIdx=0 oIdx=0 buffer=0 iui=0
/* pack scheduling: packAIdx:4, packBIdx:2 */
v_perm_b32 v[vgprValuA_X1_I0+4], v[vgprValuA_X1_I0_D1+1], v[vgprValuA_X1_I0_D0+1], s[sgprPackKForV0] // select K=01 for vector=0
v_perm_b32 v[vgprValuA_X1_I0+5], v[vgprValuA_X1_I0_D3+1], v[vgprValuA_X1_I0_D2+1], s[sgprPackKForV0] // select K=23 for vector=0
v_mfma_f32_16x16x16_f16 a[4+0:7+0], v[vgprValuB_X1_I0+0+0+0:vgprValuB_X1_I0+0+0+0+1], v[vgprValuA_X1_I0+2+0+0:vgprValuA_X1_I0+2+0+0+1], a[4:7]
/*  mfmaIndex:18  */
_ds_load_b64 v[vgprValuA_X0_I0_D1+0:vgprValuA_X0_I0_D1+0+1], v[vgprLocalReadAddrA] offset:33024 // L -> Reg lro=0 swapByteOffset=32768 ti=128 vIdx=0 rIdx=1 oIdx=0 buffer=0 iui=0
/* pack scheduling: packAIdx:6, packBIdx:2 */
v_perm_b32 v[vgprValuA_X1_I0+6], v[vgprValuA_X1_I0_D1+1], v[vgprValuA_X1_I0_D0+1], s[sgprPackKForV1] // select K=01 for vector=1
v_perm_b32 v[vgprValuA_X1_I0+7], v[vgprValuA_X1_I0_D3+1], v[vgprValuA_X1_I0_D2+1], s[sgprPackKForV1] // select K=23 for vector=1
v_mfma_f32_16x16x16_f16 a[8+0:11+0], v[vgprValuB_X1_I0+0+0+0:vgprValuB_X1_I0+0+0+0+1], v[vgprValuA_X1_I0+4+0+0:vgprValuA_X1_I0+4+0+0+1], a[8:11]
/*  mfmaIndex:19  */
_ds_load_b64 v[vgprValuA_X0_I0_D2+0:vgprValuA_X0_I0_D2+0+1], v[vgprLocalReadAddrA] offset:33280 // L -> Reg lro=0 swapByteOffset=32768 ti=128 vIdx=0 rIdx=2 oIdx=0 buffer=0 iui=0
/* pack scheduling: packAIdx:8, packBIdx:2 */
v_perm_b32 v[vgprValuB_X1_I0+2], v[vgprValuB_X1_I0_D1+0], v[vgprValuB_X1_I0_D0+0], s[sgprPackKForV1] // select K=01 for vector=1
v_perm_b32 v[vgprValuB_X1_I0+3], v[vgprValuB_X1_I0_D3+0], v[vgprValuB_X1_I0_D2+0], s[sgprPackKForV1] // select K=23 for vector=1
v_mfma_f32_16x16x16_f16 a[12+0:15+0], v[vgprValuB_X1_I0+0+0+0:vgprValuB_X1_I0+0+0+0+1], v[vgprValuA_X1_I0+6+0+0:vgprValuA_X1_I0+6+0+0+1], a[12:15]
/*  mfmaIndex:20  */
_ds_load_b64 v[vgprValuA_X0_I0_D3+0:vgprValuA_X0_I0_D3+0+1], v[vgprLocalReadAddrA] offset:33536 // L -> Reg lro=0 swapByteOffset=32768 ti=128 vIdx=0 rIdx=3 oIdx=0 buffer=0 iui=0
/* pack scheduling: packAIdx:8, packBIdx:4 */
v_perm_b32 v[vgprValuB_X1_I0+4], v[vgprValuB_X1_I0_D1+1], v[vgprValuB_X1_I0_D0+1], s[sgprPackKForV0] // select K=01 for vector=0
v_perm_b32 v[vgprValuB_X1_I0+5], v[vgprValuB_X1_I0_D3+1], v[vgprValuB_X1_I0_D2+1], s[sgprPackKForV0] // select K=23 for vector=0
v_mfma_f32_16x16x16_f16 a[28+0:31+0], v[vgprValuB_X1_I0+2+0+0:vgprValuB_X1_I0+2+0+0+1], v[vgprValuA_X1_I0+6+0+0:vgprValuA_X1_I0+6+0+0+1], a[28:31]
/*  mfmaIndex:21  */
_ds_load_b32 v[vgprValuB_X0_I0_D0+0], v[vgprLocalReadAddrB] offset:32768 // L -> Reg lro=0 swapByteOffset=32768 ti=64 vIdx=0 rIdx=0 oIdx=0 buffer=0 iui=0
/* pack scheduling: packAIdx:8, packBIdx:4 */
v_perm_b32 v[vgprValuB_X1_I0+6], v[vgprValuB_X1_I0_D1+1], v[vgprValuB_X1_I0_D0+1], s[sgprPackKForV1] // select K=01 for vector=1
v_perm_b32 v[vgprValuB_X1_I0+7], v[vgprValuB_X1_I0_D3+1], v[vgprValuB_X1_I0_D2+1], s[sgprPackKForV1] // select K=23 for vector=1
v_mfma_f32_16x16x16_f16 a[24+0:27+0], v[vgprValuB_X1_I0+2+0+0:vgprValuB_X1_I0+2+0+0+1], v[vgprValuA_X1_I0+4+0+0:vgprValuA_X1_I0+4+0+0+1], a[24:27]
/*  mfmaIndex:22  */
_ds_load_b32 v[vgprValuB_X0_I0_D1+0], v[vgprLocalReadAddrB] offset:33024 // L -> Reg lro=0 swapByteOffset=32768 ti=64 vIdx=0 rIdx=1 oIdx=0 buffer=0 iui=0
v_mfma_f32_16x16x16_f16 a[20+0:23+0], v[vgprValuB_X1_I0+2+0+0:vgprValuB_X1_I0+2+0+0+1], v[vgprValuA_X1_I0+2+0+0:vgprValuA_X1_I0+2+0+0+1], a[20:23]
/*  mfmaIndex:23  */
_ds_load_b32 v[vgprValuB_X0_I0_D2+0], v[vgprLocalReadAddrB] offset:33280 // L -> Reg lro=0 swapByteOffset=32768 ti=64 vIdx=0 rIdx=2 oIdx=0 buffer=0 iui=0
v_mfma_f32_16x16x16_f16 a[16+0:19+0], v[vgprValuB_X1_I0+2+0+0:vgprValuB_X1_I0+2+0+0+1], v[vgprValuA_X1_I0+0+0+0:vgprValuA_X1_I0+0+0+0+1], a[16:19]
/*  mfmaIndex:24  */
_ds_load_b32 v[vgprValuB_X0_I0_D3+0], v[vgprLocalReadAddrB] offset:33536 // L -> Reg lro=0 swapByteOffset=32768 ti=64 vIdx=0 rIdx=3 oIdx=0 buffer=0 iui=0
v_mfma_f32_16x16x16_f16 a[32+0:35+0], v[vgprValuB_X1_I0+4+0+0:vgprValuB_X1_I0+4+0+0+1], v[vgprValuA_X1_I0+0+0+0:vgprValuA_X1_I0+0+0+0+1], a[32:35]
/*  mfmaIndex:25  */
_ds_load_b32 v[vgprValuB_X0_I0_D0+1], v[vgprLocalReadAddrB] offset:32896 // L -> Reg lro=0 swapByteOffset=32768 ti=64 vIdx=1 rIdx=0 oIdx=0 buffer=0 iui=0
v_mfma_f32_16x16x16_f16 a[36+0:39+0], v[vgprValuB_X1_I0+4+0+0:vgprValuB_X1_I0+4+0+0+1], v[vgprValuA_X1_I0+2+0+0:vgprValuA_X1_I0+2+0+0+1], a[36:39]
/*  mfmaIndex:26  */
_ds_load_b32 v[vgprValuB_X0_I0_D1+1], v[vgprLocalReadAddrB] offset:33152 // L -> Reg lro=0 swapByteOffset=32768 ti=64 vIdx=1 rIdx=1 oIdx=0 buffer=0 iui=0
v_mfma_f32_16x16x16_f16 a[40+0:43+0], v[vgprValuB_X1_I0+4+0+0:vgprValuB_X1_I0+4+0+0+1], v[vgprValuA_X1_I0+4+0+0:vgprValuA_X1_I0+4+0+0+1], a[40:43]
/*  mfmaIndex:27  */
_ds_load_b32 v[vgprValuB_X0_I0_D2+1], v[vgprLocalReadAddrB] offset:33408 // L -> Reg lro=0 swapByteOffset=32768 ti=64 vIdx=1 rIdx=2 oIdx=0 buffer=0 iui=0
v_mfma_f32_16x16x16_f16 a[44+0:47+0], v[vgprValuB_X1_I0+4+0+0:vgprValuB_X1_I0+4+0+0+1], v[vgprValuA_X1_I0+6+0+0:vgprValuA_X1_I0+6+0+0+1], a[44:47]
/*  mfmaIndex:28  */
_ds_load_b32 v[vgprValuB_X0_I0_D3+1], v[vgprLocalReadAddrB] offset:33664 // L -> Reg lro=0 swapByteOffset=32768 ti=64 vIdx=1 rIdx=3 oIdx=0 buffer=0 iui=0
v_mfma_f32_16x16x16_f16 a[60+0:63+0], v[vgprValuB_X1_I0+6+0+0:vgprValuB_X1_I0+6+0+0+1], v[vgprValuA_X1_I0+6+0+0:vgprValuA_X1_I0+6+0+0+1], a[60:63]
/*  mfmaIndex:29  */
v_mfma_f32_16x16x16_f16 a[56+0:59+0], v[vgprValuB_X1_I0+6+0+0:vgprValuB_X1_I0+6+0+0+1], v[vgprValuA_X1_I0+4+0+0:vgprValuA_X1_I0+4+0+0+1], a[56:59]
/*  mfmaIndex:30  */
	;; [unrolled: 2-line block ×3, first 2 shown]
v_mfma_f32_16x16x16_f16 a[48+0:51+0], v[vgprValuB_X1_I0+6+0+0:vgprValuB_X1_I0+6+0+0+1], v[vgprValuA_X1_I0+0+0+0:vgprValuA_X1_I0+0+0+0+1], a[48:51]
/* numPrefetchIter=1 */
/* dataAtIterA=0 numReadsIterA=1 skipReadsIterA=1 readsPerIterA=4 */
/* dataAtIterB=0 numReadsIterB=1 skipReadsIterB=1 readsPerIterB=8 */


/******************************************/
/* Unrolled Loop - End 1/2                */
/******************************************/


/* closeLoop loopL finalLoop=0 tailLoop=0 */
s_sub_u32 s[sgprLoopCounterL], s[sgprLoopCounterL], 1 // dec counterL
s_cmp_eq_i32 s[sgprLoopCounterL], 0x2              // counterL==2
s_cbranch_scc1 LoopEndL_oddexit_3                  // exit LoopL


/******************************************/
/* Unrolled Loop 2/2 - Begin              */
/******************************************/

label_0016: // LoopCopy2 


/* Begin Each Unroll: Check VGPR.checkin for INT8 LW */


	;; [unrolled: 1-line block ×3, first 2 shown]
/* iter 0 (reset local read pointers iteration)  (swap and reset local write pointers iteration)  (swap local read pointers iteration)  */

/*  grEndMfmaIndex:13, lwStartMfmaIndex:13, lwEndMfmaIndex:13  */
/*  numMfmaForLR:15, barrierMfmaIndex:16, LocalWritePerMfma:4.000 */
/*  mfmaIndex:0  */
s_waitcnt lgkmcnt(0)                               // lgkmcnt=0 vmcnt=-1wait for prior local read local write old=0, new=0 newLW=0 newLR=0
/* pack scheduling: packAIdx:2, packBIdx:2 */
v_perm_b32 v[vgprValuA_X0_I0+0], v[vgprValuA_X0_I0_D1+0], v[vgprValuA_X0_I0_D0+0], s[sgprPackKForV0] // select K=01 for vector=0
v_perm_b32 v[vgprValuA_X0_I0+1], v[vgprValuA_X0_I0_D3+0], v[vgprValuA_X0_I0_D2+0], s[sgprPackKForV0] // select K=23 for vector=0
v_perm_b32 v[vgprValuB_X0_I0+0], v[vgprValuB_X0_I0_D1+0], v[vgprValuB_X0_I0_D0+0], s[sgprPackKForV0] // select K=01 for vector=0
v_perm_b32 v[vgprValuB_X0_I0+1], v[vgprValuB_X0_I0_D3+0], v[vgprValuB_X0_I0_D2+0], s[sgprPackKForV0] // select K=23 for vector=0
v_perm_b32 v[vgprValuA_X0_I0+2], v[vgprValuA_X0_I0_D1+0], v[vgprValuA_X0_I0_D0+0], s[sgprPackKForV1] // select K=01 for vector=1
v_perm_b32 v[vgprValuA_X0_I0+3], v[vgprValuA_X0_I0_D3+0], v[vgprValuA_X0_I0_D2+0], s[sgprPackKForV1] // select K=23 for vector=1
v_mfma_f32_16x16x16_f16 a[0+0:3+0], v[vgprValuB_X0_I0+0+0+0:vgprValuB_X0_I0+0+0+0+1], v[vgprValuA_X0_I0+0+0+0:vgprValuA_X0_I0+0+0+0+1], a[0:3]
/*  mfmaIndex:1  */
_ds_load_b64 v[vgprValuA_X1_I0_D0+0:vgprValuA_X1_I0_D0+0+1], v[vgprLocalReadAddrA] offset:36864 // L -> Reg lro=2048 swapByteOffset=32768 ti=128 vIdx=0 rIdx=0 oIdx=0 buffer=1 iui=0

/* global read inc A loopL */
s_cmp_eq_u32 s[sgprLoopCounterL], s[sgprStaggerUIter] // Is this the wrapIter?
/* pack scheduling: packAIdx:4, packBIdx:2 */
v_perm_b32 v[vgprValuA_X0_I0+4], v[vgprValuA_X0_I0_D1+1], v[vgprValuA_X0_I0_D0+1], s[sgprPackKForV0] // select K=01 for vector=0
v_perm_b32 v[vgprValuA_X0_I0+5], v[vgprValuA_X0_I0_D3+1], v[vgprValuA_X0_I0_D2+1], s[sgprPackKForV0] // select K=23 for vector=0
v_mfma_f32_16x16x16_f16 a[4+0:7+0], v[vgprValuB_X0_I0+0+0+0:vgprValuB_X0_I0+0+0+0+1], v[vgprValuA_X0_I0+2+0+0:vgprValuA_X0_I0+2+0+0+1], a[4:7]
/*  mfmaIndex:2  */
_ds_load_b64 v[vgprValuA_X1_I0_D1+0:vgprValuA_X1_I0_D1+0+1], v[vgprLocalReadAddrA] offset:37120 // L -> Reg lro=2048 swapByteOffset=32768 ti=128 vIdx=0 rIdx=1 oIdx=0 buffer=1 iui=0
s_cselect_b32 s58, s[sgprWrapUA+0], s[sgprGlobalReadIncsA+0] // incLower <- ?
/* pack scheduling: packAIdx:6, packBIdx:2 */
v_perm_b32 v[vgprValuA_X0_I0+6], v[vgprValuA_X0_I0_D1+1], v[vgprValuA_X0_I0_D0+1], s[sgprPackKForV1] // select K=01 for vector=1
v_perm_b32 v[vgprValuA_X0_I0+7], v[vgprValuA_X0_I0_D3+1], v[vgprValuA_X0_I0_D2+1], s[sgprPackKForV1] // select K=23 for vector=1
v_mfma_f32_16x16x16_f16 a[8+0:11+0], v[vgprValuB_X0_I0+0+0+0:vgprValuB_X0_I0+0+0+0+1], v[vgprValuA_X0_I0+4+0+0:vgprValuA_X0_I0+4+0+0+1], a[8:11]
/*  mfmaIndex:3  */
_ds_load_b64 v[vgprValuA_X1_I0_D2+0:vgprValuA_X1_I0_D2+0+1], v[vgprLocalReadAddrA] offset:37376 // L -> Reg lro=2048 swapByteOffset=32768 ti=128 vIdx=0 rIdx=2 oIdx=0 buffer=1 iui=0
s_cselect_b32 s59, s[sgprWrapUA+1], 0              // incUpper <- ?
/* pack scheduling: packAIdx:8, packBIdx:2 */
v_perm_b32 v[vgprValuB_X0_I0+2], v[vgprValuB_X0_I0_D1+0], v[vgprValuB_X0_I0_D0+0], s[sgprPackKForV1] // select K=01 for vector=1
v_perm_b32 v[vgprValuB_X0_I0+3], v[vgprValuB_X0_I0_D3+0], v[vgprValuB_X0_I0_D2+0], s[sgprPackKForV1] // select K=23 for vector=1
v_mfma_f32_16x16x16_f16 a[12+0:15+0], v[vgprValuB_X0_I0+0+0+0:vgprValuB_X0_I0+0+0+0+1], v[vgprValuA_X0_I0+6+0+0:vgprValuA_X0_I0+6+0+0+1], a[12:15]
/*  mfmaIndex:4  */
_ds_load_b64 v[vgprValuA_X1_I0_D3+0:vgprValuA_X1_I0_D3+0+1], v[vgprLocalReadAddrA] offset:37632 // L -> Reg lro=2048 swapByteOffset=32768 ti=128 vIdx=0 rIdx=3 oIdx=0 buffer=1 iui=0
s_add_u32 s[sgprSrdA+0], s[sgprSrdA+0], s58        // gra SRD += inc(lower)
/* pack scheduling: packAIdx:8, packBIdx:4 */
v_perm_b32 v[vgprValuB_X0_I0+4], v[vgprValuB_X0_I0_D1+1], v[vgprValuB_X0_I0_D0+1], s[sgprPackKForV0] // select K=01 for vector=0
v_perm_b32 v[vgprValuB_X0_I0+5], v[vgprValuB_X0_I0_D3+1], v[vgprValuB_X0_I0_D2+1], s[sgprPackKForV0] // select K=23 for vector=0
v_mfma_f32_16x16x16_f16 a[28+0:31+0], v[vgprValuB_X0_I0+2+0+0:vgprValuB_X0_I0+2+0+0+1], v[vgprValuA_X0_I0+6+0+0:vgprValuA_X0_I0+6+0+0+1], a[28:31]
/*  mfmaIndex:5  */
_ds_load_b32 v[vgprValuB_X1_I0_D0+0], v[vgprLocalReadAddrB] offset:37120 // L -> Reg lro=2048 swapByteOffset=32768 ti=64 vIdx=0 rIdx=0 oIdx=0 buffer=1 iui=0
s_addc_u32  s[sgprSrdA+1], s[sgprSrdA+1], s59      // gra SRD += inc(upper)
/* pack scheduling: packAIdx:8, packBIdx:4 */
v_perm_b32 v[vgprValuB_X0_I0+6], v[vgprValuB_X0_I0_D1+1], v[vgprValuB_X0_I0_D0+1], s[sgprPackKForV1] // select K=01 for vector=1
v_perm_b32 v[vgprValuB_X0_I0+7], v[vgprValuB_X0_I0_D3+1], v[vgprValuB_X0_I0_D2+1], s[sgprPackKForV1] // select K=23 for vector=1
v_mfma_f32_16x16x16_f16 a[24+0:27+0], v[vgprValuB_X0_I0+2+0+0:vgprValuB_X0_I0+2+0+0+1], v[vgprValuA_X0_I0+4+0+0:vgprValuA_X0_I0+4+0+0+1], a[24:27]
/*  mfmaIndex:6  */
_ds_load_b32 v[vgprValuB_X1_I0_D1+0], v[vgprLocalReadAddrB] offset:37376 // L -> Reg lro=2048 swapByteOffset=32768 ti=64 vIdx=0 rIdx=1 oIdx=0 buffer=1 iui=0
s_sub_u32 s[sgprShadowLimitA+0], s[sgprShadowLimitA+0], s58 // limit -= inc)
v_mfma_f32_16x16x16_f16 a[20+0:23+0], v[vgprValuB_X0_I0+2+0+0:vgprValuB_X0_I0+2+0+0+1], v[vgprValuA_X0_I0+2+0+0:vgprValuA_X0_I0+2+0+0+1], a[20:23]
/*  mfmaIndex:7  */
_ds_load_b32 v[vgprValuB_X1_I0_D2+0], v[vgprLocalReadAddrB] offset:37632 // L -> Reg lro=2048 swapByteOffset=32768 ti=64 vIdx=0 rIdx=2 oIdx=0 buffer=1 iui=0
s_subb_u32 s[sgprShadowLimitA+1], s[sgprShadowLimitA+1], s59 // limit -= inc)
v_mfma_f32_16x16x16_f16 a[16+0:19+0], v[vgprValuB_X0_I0+2+0+0:vgprValuB_X0_I0+2+0+0+1], v[vgprValuA_X0_I0+0+0+0:vgprValuA_X0_I0+0+0+0+1], a[16:19]
/*  mfmaIndex:8  */
_ds_load_b32 v[vgprValuB_X1_I0_D3+0], v[vgprLocalReadAddrB] offset:37888 // L -> Reg lro=2048 swapByteOffset=32768 ti=64 vIdx=0 rIdx=3 oIdx=0 buffer=1 iui=0
s_cmp_eq_u32 s[sgprShadowLimitA+1], 0              // are we within 2^32?
v_mfma_f32_16x16x16_f16 a[32+0:35+0], v[vgprValuB_X0_I0+4+0+0:vgprValuB_X0_I0+4+0+0+1], v[vgprValuA_X0_I0+0+0+0:vgprValuA_X0_I0+0+0+0+1], a[32:35]
/*  mfmaIndex:9  */
_ds_load_b32 v[vgprValuB_X1_I0_D0+1], v[vgprLocalReadAddrB] offset:37248 // L -> Reg lro=2048 swapByteOffset=32768 ti=64 vIdx=1 rIdx=0 oIdx=0 buffer=1 iui=0
s_cselect_b32 s[sgprSrdA+2], s[sgprShadowLimitA+0], BufferLimitA // Move shadow to real if we are within 2^32
v_mfma_f32_16x16x16_f16 a[36+0:39+0], v[vgprValuB_X0_I0+4+0+0:vgprValuB_X0_I0+4+0+0+1], v[vgprValuA_X0_I0+2+0+0:vgprValuA_X0_I0+2+0+0+1], a[36:39]
/*  mfmaIndex:10  */
_ds_load_b32 v[vgprValuB_X1_I0_D1+1], v[vgprLocalReadAddrB] offset:37504 // L -> Reg lro=2048 swapByteOffset=32768 ti=64 vIdx=1 rIdx=1 oIdx=0 buffer=1 iui=0

/* global read inc B loopL */
s_cmp_eq_u32 s[sgprLoopCounterL], s[sgprStaggerUIter] // Is this the wrapIter?
v_mfma_f32_16x16x16_f16 a[40+0:43+0], v[vgprValuB_X0_I0+4+0+0:vgprValuB_X0_I0+4+0+0+1], v[vgprValuA_X0_I0+4+0+0:vgprValuA_X0_I0+4+0+0+1], a[40:43]
/*  mfmaIndex:11  */
_ds_load_b32 v[vgprValuB_X1_I0_D2+1], v[vgprLocalReadAddrB] offset:37760 // L -> Reg lro=2048 swapByteOffset=32768 ti=64 vIdx=1 rIdx=2 oIdx=0 buffer=1 iui=0
s_cselect_b32 s58, s[sgprWrapUB+0], s[sgprGlobalReadIncsB+0] // incLower <- ?
v_mfma_f32_16x16x16_f16 a[44+0:47+0], v[vgprValuB_X0_I0+4+0+0:vgprValuB_X0_I0+4+0+0+1], v[vgprValuA_X0_I0+6+0+0:vgprValuA_X0_I0+6+0+0+1], a[44:47]
/*  mfmaIndex:12  */
_ds_load_b32 v[vgprValuB_X1_I0_D3+1], v[vgprLocalReadAddrB] offset:38016 // L -> Reg lro=2048 swapByteOffset=32768 ti=64 vIdx=1 rIdx=3 oIdx=0 buffer=1 iui=0
s_cselect_b32 s59, s[sgprWrapUB+1], 0              // incUpper <- ?
v_mfma_f32_16x16x16_f16 a[60+0:63+0], v[vgprValuB_X0_I0+6+0+0:vgprValuB_X0_I0+6+0+0+1], v[vgprValuA_X0_I0+6+0+0:vgprValuA_X0_I0+6+0+0+1], a[60:63]
/*  mfmaIndex:13  */
s_add_u32 s[sgprSrdB+0], s[sgprSrdB+0], s58        // gra SRD += inc(lower)
s_addc_u32  s[sgprSrdB+1], s[sgprSrdB+1], s59      // gra SRD += inc(upper)
s_sub_u32 s[sgprShadowLimitB+0], s[sgprShadowLimitB+0], s58 // limit -= inc)
s_subb_u32 s[sgprShadowLimitB+1], s[sgprShadowLimitB+1], s59 // limit -= inc)
s_cmp_eq_u32 s[sgprShadowLimitB+1], 0              // are we within 2^32?
s_cselect_b32 s[sgprSrdB+2], s[sgprShadowLimitB+0], BufferLimitB // Move shadow to real if we are within 2^32
/* sched write - iter 0 writesPerItem=1 */
s_waitcnt vmcnt(0)                                 // lgkmcnt=-1 vmcnt=0wait for global read before writing to local
_ds_store_b128 v[vgprLocalWriteAddrA], v[vgprG2LA+0:vgprG2LA+0+3] offset:0 // lwoA_0_0_0_0 = (0*LSCA) + (0*LSPA)(*MT0I+PAD) = 0
_buffer_load_b128 v[vgprG2LA+0:vgprG2LA+0+3], v[vgprGlobalReadOffsetA+0], s[sgprSrdA:sgprSrdA+3], 0, offen offset:0 // G -> Reg 0_0_0_0
/* sched write - iter 0 writesPerItem=1 */
s_waitcnt vmcnt(0)                                 // lgkmcnt=-1 vmcnt=0wait for global read before writing to local
_ds_store_b128 v[vgprLocalWriteAddrA], v[vgprG2LA+4:vgprG2LA+4+3] offset:1024 // lwoA_0_0_1_0 = (0*LSCA) + (1*LSPA)(*MT0I+PAD) = 1024
_buffer_load_b128 v[vgprG2LA+4:vgprG2LA+4+3], v[vgprGlobalReadOffsetA+1], s[sgprSrdA:sgprSrdA+3], 0, offen offset:0 // G -> Reg 0_0_1_0
/* sched write - iter 0 writesPerItem=1 */
s_waitcnt vmcnt(0)                                 // lgkmcnt=-1 vmcnt=0wait for global read before writing to local
_ds_store_b128 v[vgprLocalWriteAddrB], v[vgprG2LB+0:vgprG2LB+0+3] offset:0 // lwoB_0_0_0_0 = (0*LSCB) + (0*LSPB)(*MT1J+PAD) = 0
_buffer_load_b128 v[vgprG2LB+0:vgprG2LB+0+3], v[vgprGlobalReadOffsetB+0], s[sgprSrdB:sgprSrdB+3], 0, offen offset:0 // G -> Reg 0_0_0_0
/* sched write - iter 0 writesPerItem=1 */
s_waitcnt vmcnt(0)                                 // lgkmcnt=-1 vmcnt=0wait for global read before writing to local
_ds_store_b128 v[vgprLocalWriteAddrB], v[vgprG2LB+4:vgprG2LB+4+3] offset:4352 // lwoB_0_0_1_0 = (0*LSCB) + (1*LSPB)(*MT1J+PAD) = 4352
_buffer_load_b128 v[vgprG2LB+4:vgprG2LB+4+3], v[vgprGlobalReadOffsetB+1], s[sgprSrdB:sgprSrdB+3], 0, offen offset:0 // G -> Reg 0_0_1_0

/* local write swap offsets a */

/* (EPS=1) local write swap internal offset -> 32768 */

/* local write swap offsets b */

/* (EPS=1) local write swap internal offset -> 32768 */
v_mfma_f32_16x16x16_f16 a[56+0:59+0], v[vgprValuB_X0_I0+6+0+0:vgprValuB_X0_I0+6+0+0+1], v[vgprValuA_X0_I0+4+0+0:vgprValuA_X0_I0+4+0+0+1], a[56:59]
/*  mfmaIndex:14  */
/* localReadsVacancy: latencyLeft 2 */
v_mfma_f32_16x16x16_f16 a[52+0:55+0], v[vgprValuB_X0_I0+6+0+0:vgprValuB_X0_I0+6+0+0+1], v[vgprValuA_X0_I0+2+0+0:vgprValuA_X0_I0+2+0+0+1], a[52:55]
/*  mfmaIndex:15  */
/* localReadsVacancy: latencyLeft 2 */

/* local read swap offsets a */

/* local read swap internal offset -> 0 */

/* local read swap offsets b */

/* local read swap internal offset -> 0 */

/* local read init pointers a */

/* localReadInitPointers */

/* local read init pointers b */

/* localReadInitPointers */
v_mfma_f32_16x16x16_f16 a[48+0:51+0], v[vgprValuB_X0_I0+6+0+0:vgprValuB_X0_I0+6+0+0+1], v[vgprValuA_X0_I0+0+0+0:vgprValuA_X0_I0+0+0+0+1], a[48:51]
/* numPrefetchIter=0 */
/* dataAtIterA=-1 numReadsIterA=1 skipReadsIterA=1 readsPerIterA=4 */
/* dataAtIterB=-1 numReadsIterB=1 skipReadsIterB=1 readsPerIterB=8 */


/* iter 1 */

/*  grEndMfmaIndex:13, lwStartMfmaIndex:13, lwEndMfmaIndex:13  */
/*  numMfmaForLR:15, barrierMfmaIndex:16, LocalWritePerMfma:4.000 */
/*  mfmaIndex:16  */
s_waitcnt lgkmcnt(0)                               // lgkmcnt=0 vmcnt=-13wait for local write
// Skip force waitcnt0
s_barrier //
s_waitcnt lgkmcnt(4)                               // lgkmcnt=0 vmcnt=-1wait for prior local read local write old=0, new=4 newLW=4 newLR=0
/* pack scheduling: packAIdx:2, packBIdx:2 */
v_perm_b32 v[vgprValuA_X1_I0+0], v[vgprValuA_X1_I0_D1+0], v[vgprValuA_X1_I0_D0+0], s[sgprPackKForV0] // select K=01 for vector=0
v_perm_b32 v[vgprValuA_X1_I0+1], v[vgprValuA_X1_I0_D3+0], v[vgprValuA_X1_I0_D2+0], s[sgprPackKForV0] // select K=23 for vector=0
v_perm_b32 v[vgprValuB_X1_I0+0], v[vgprValuB_X1_I0_D1+0], v[vgprValuB_X1_I0_D0+0], s[sgprPackKForV0] // select K=01 for vector=0
v_perm_b32 v[vgprValuB_X1_I0+1], v[vgprValuB_X1_I0_D3+0], v[vgprValuB_X1_I0_D2+0], s[sgprPackKForV0] // select K=23 for vector=0
v_perm_b32 v[vgprValuA_X1_I0+2], v[vgprValuA_X1_I0_D1+0], v[vgprValuA_X1_I0_D0+0], s[sgprPackKForV1] // select K=01 for vector=1
v_perm_b32 v[vgprValuA_X1_I0+3], v[vgprValuA_X1_I0_D3+0], v[vgprValuA_X1_I0_D2+0], s[sgprPackKForV1] // select K=23 for vector=1
v_mfma_f32_16x16x16_f16 a[0+0:3+0], v[vgprValuB_X1_I0+0+0+0:vgprValuB_X1_I0+0+0+0+1], v[vgprValuA_X1_I0+0+0+0:vgprValuA_X1_I0+0+0+0+1], a[0:3]
/*  mfmaIndex:17  */
_ds_load_b64 v[vgprValuA_X0_I0_D0+0:vgprValuA_X0_I0_D0+0+1], v[vgprLocalReadAddrA] offset:0 // L -> Reg lro=0 swapByteOffset=0 ti=128 vIdx=0 rIdx=0 oIdx=0 buffer=0 iui=0
/* pack scheduling: packAIdx:4, packBIdx:2 */
v_perm_b32 v[vgprValuA_X1_I0+4], v[vgprValuA_X1_I0_D1+1], v[vgprValuA_X1_I0_D0+1], s[sgprPackKForV0] // select K=01 for vector=0
v_perm_b32 v[vgprValuA_X1_I0+5], v[vgprValuA_X1_I0_D3+1], v[vgprValuA_X1_I0_D2+1], s[sgprPackKForV0] // select K=23 for vector=0
v_mfma_f32_16x16x16_f16 a[4+0:7+0], v[vgprValuB_X1_I0+0+0+0:vgprValuB_X1_I0+0+0+0+1], v[vgprValuA_X1_I0+2+0+0:vgprValuA_X1_I0+2+0+0+1], a[4:7]
/*  mfmaIndex:18  */
_ds_load_b64 v[vgprValuA_X0_I0_D1+0:vgprValuA_X0_I0_D1+0+1], v[vgprLocalReadAddrA] offset:256 // L -> Reg lro=0 swapByteOffset=0 ti=128 vIdx=0 rIdx=1 oIdx=0 buffer=0 iui=0
/* pack scheduling: packAIdx:6, packBIdx:2 */
v_perm_b32 v[vgprValuA_X1_I0+6], v[vgprValuA_X1_I0_D1+1], v[vgprValuA_X1_I0_D0+1], s[sgprPackKForV1] // select K=01 for vector=1
v_perm_b32 v[vgprValuA_X1_I0+7], v[vgprValuA_X1_I0_D3+1], v[vgprValuA_X1_I0_D2+1], s[sgprPackKForV1] // select K=23 for vector=1
v_mfma_f32_16x16x16_f16 a[8+0:11+0], v[vgprValuB_X1_I0+0+0+0:vgprValuB_X1_I0+0+0+0+1], v[vgprValuA_X1_I0+4+0+0:vgprValuA_X1_I0+4+0+0+1], a[8:11]
/*  mfmaIndex:19  */
_ds_load_b64 v[vgprValuA_X0_I0_D2+0:vgprValuA_X0_I0_D2+0+1], v[vgprLocalReadAddrA] offset:512 // L -> Reg lro=0 swapByteOffset=0 ti=128 vIdx=0 rIdx=2 oIdx=0 buffer=0 iui=0
/* pack scheduling: packAIdx:8, packBIdx:2 */
v_perm_b32 v[vgprValuB_X1_I0+2], v[vgprValuB_X1_I0_D1+0], v[vgprValuB_X1_I0_D0+0], s[sgprPackKForV1] // select K=01 for vector=1
v_perm_b32 v[vgprValuB_X1_I0+3], v[vgprValuB_X1_I0_D3+0], v[vgprValuB_X1_I0_D2+0], s[sgprPackKForV1] // select K=23 for vector=1
v_mfma_f32_16x16x16_f16 a[12+0:15+0], v[vgprValuB_X1_I0+0+0+0:vgprValuB_X1_I0+0+0+0+1], v[vgprValuA_X1_I0+6+0+0:vgprValuA_X1_I0+6+0+0+1], a[12:15]
/*  mfmaIndex:20  */
_ds_load_b64 v[vgprValuA_X0_I0_D3+0:vgprValuA_X0_I0_D3+0+1], v[vgprLocalReadAddrA] offset:768 // L -> Reg lro=0 swapByteOffset=0 ti=128 vIdx=0 rIdx=3 oIdx=0 buffer=0 iui=0
/* pack scheduling: packAIdx:8, packBIdx:4 */
v_perm_b32 v[vgprValuB_X1_I0+4], v[vgprValuB_X1_I0_D1+1], v[vgprValuB_X1_I0_D0+1], s[sgprPackKForV0] // select K=01 for vector=0
v_perm_b32 v[vgprValuB_X1_I0+5], v[vgprValuB_X1_I0_D3+1], v[vgprValuB_X1_I0_D2+1], s[sgprPackKForV0] // select K=23 for vector=0
v_mfma_f32_16x16x16_f16 a[28+0:31+0], v[vgprValuB_X1_I0+2+0+0:vgprValuB_X1_I0+2+0+0+1], v[vgprValuA_X1_I0+6+0+0:vgprValuA_X1_I0+6+0+0+1], a[28:31]
/*  mfmaIndex:21  */
_ds_load_b32 v[vgprValuB_X0_I0_D0+0], v[vgprLocalReadAddrB] offset:0 // L -> Reg lro=0 swapByteOffset=0 ti=64 vIdx=0 rIdx=0 oIdx=0 buffer=0 iui=0
/* pack scheduling: packAIdx:8, packBIdx:4 */
v_perm_b32 v[vgprValuB_X1_I0+6], v[vgprValuB_X1_I0_D1+1], v[vgprValuB_X1_I0_D0+1], s[sgprPackKForV1] // select K=01 for vector=1
v_perm_b32 v[vgprValuB_X1_I0+7], v[vgprValuB_X1_I0_D3+1], v[vgprValuB_X1_I0_D2+1], s[sgprPackKForV1] // select K=23 for vector=1
v_mfma_f32_16x16x16_f16 a[24+0:27+0], v[vgprValuB_X1_I0+2+0+0:vgprValuB_X1_I0+2+0+0+1], v[vgprValuA_X1_I0+4+0+0:vgprValuA_X1_I0+4+0+0+1], a[24:27]
/*  mfmaIndex:22  */
_ds_load_b32 v[vgprValuB_X0_I0_D1+0], v[vgprLocalReadAddrB] offset:256 // L -> Reg lro=0 swapByteOffset=0 ti=64 vIdx=0 rIdx=1 oIdx=0 buffer=0 iui=0
v_mfma_f32_16x16x16_f16 a[20+0:23+0], v[vgprValuB_X1_I0+2+0+0:vgprValuB_X1_I0+2+0+0+1], v[vgprValuA_X1_I0+2+0+0:vgprValuA_X1_I0+2+0+0+1], a[20:23]
/*  mfmaIndex:23  */
_ds_load_b32 v[vgprValuB_X0_I0_D2+0], v[vgprLocalReadAddrB] offset:512 // L -> Reg lro=0 swapByteOffset=0 ti=64 vIdx=0 rIdx=2 oIdx=0 buffer=0 iui=0
v_mfma_f32_16x16x16_f16 a[16+0:19+0], v[vgprValuB_X1_I0+2+0+0:vgprValuB_X1_I0+2+0+0+1], v[vgprValuA_X1_I0+0+0+0:vgprValuA_X1_I0+0+0+0+1], a[16:19]
/*  mfmaIndex:24  */
_ds_load_b32 v[vgprValuB_X0_I0_D3+0], v[vgprLocalReadAddrB] offset:768 // L -> Reg lro=0 swapByteOffset=0 ti=64 vIdx=0 rIdx=3 oIdx=0 buffer=0 iui=0
v_mfma_f32_16x16x16_f16 a[32+0:35+0], v[vgprValuB_X1_I0+4+0+0:vgprValuB_X1_I0+4+0+0+1], v[vgprValuA_X1_I0+0+0+0:vgprValuA_X1_I0+0+0+0+1], a[32:35]
/*  mfmaIndex:25  */
_ds_load_b32 v[vgprValuB_X0_I0_D0+1], v[vgprLocalReadAddrB] offset:128 // L -> Reg lro=0 swapByteOffset=0 ti=64 vIdx=1 rIdx=0 oIdx=0 buffer=0 iui=0
v_mfma_f32_16x16x16_f16 a[36+0:39+0], v[vgprValuB_X1_I0+4+0+0:vgprValuB_X1_I0+4+0+0+1], v[vgprValuA_X1_I0+2+0+0:vgprValuA_X1_I0+2+0+0+1], a[36:39]
/*  mfmaIndex:26  */
_ds_load_b32 v[vgprValuB_X0_I0_D1+1], v[vgprLocalReadAddrB] offset:384 // L -> Reg lro=0 swapByteOffset=0 ti=64 vIdx=1 rIdx=1 oIdx=0 buffer=0 iui=0
v_mfma_f32_16x16x16_f16 a[40+0:43+0], v[vgprValuB_X1_I0+4+0+0:vgprValuB_X1_I0+4+0+0+1], v[vgprValuA_X1_I0+4+0+0:vgprValuA_X1_I0+4+0+0+1], a[40:43]
/*  mfmaIndex:27  */
_ds_load_b32 v[vgprValuB_X0_I0_D2+1], v[vgprLocalReadAddrB] offset:640 // L -> Reg lro=0 swapByteOffset=0 ti=64 vIdx=1 rIdx=2 oIdx=0 buffer=0 iui=0
v_mfma_f32_16x16x16_f16 a[44+0:47+0], v[vgprValuB_X1_I0+4+0+0:vgprValuB_X1_I0+4+0+0+1], v[vgprValuA_X1_I0+6+0+0:vgprValuA_X1_I0+6+0+0+1], a[44:47]
/*  mfmaIndex:28  */
_ds_load_b32 v[vgprValuB_X0_I0_D3+1], v[vgprLocalReadAddrB] offset:896 // L -> Reg lro=0 swapByteOffset=0 ti=64 vIdx=1 rIdx=3 oIdx=0 buffer=0 iui=0
v_mfma_f32_16x16x16_f16 a[60+0:63+0], v[vgprValuB_X1_I0+6+0+0:vgprValuB_X1_I0+6+0+0+1], v[vgprValuA_X1_I0+6+0+0:vgprValuA_X1_I0+6+0+0+1], a[60:63]
/*  mfmaIndex:29  */
v_mfma_f32_16x16x16_f16 a[56+0:59+0], v[vgprValuB_X1_I0+6+0+0:vgprValuB_X1_I0+6+0+0+1], v[vgprValuA_X1_I0+4+0+0:vgprValuA_X1_I0+4+0+0+1], a[56:59]
/*  mfmaIndex:30  */
	;; [unrolled: 2-line block ×3, first 2 shown]
v_mfma_f32_16x16x16_f16 a[48+0:51+0], v[vgprValuB_X1_I0+6+0+0:vgprValuB_X1_I0+6+0+0+1], v[vgprValuA_X1_I0+0+0+0:vgprValuA_X1_I0+0+0+0+1], a[48:51]
/* numPrefetchIter=1 */
/* dataAtIterA=0 numReadsIterA=1 skipReadsIterA=1 readsPerIterA=4 */
/* dataAtIterB=0 numReadsIterB=1 skipReadsIterB=1 readsPerIterB=8 */


/******************************************/
/* Unrolled Loop - End 2/2 (final)        */
/******************************************/


/* closeLoop loopL finalLoop=1 tailLoop=0 */
s_sub_u32 s[sgprLoopCounterL], s[sgprLoopCounterL], 1 // dec counterL
s_cmp_eq_i32 s[sgprLoopCounterL], 0x2              // counterL==2
s_cbranch_scc0 LoopBeginL_1                        // restart LoopL
LoopEndL_evenexit_4: // unroll loop eveniter exit
v_xor_b32 v[vgprLocalWriteAddrA+0], 0x8000, v[vgprLocalWriteAddrA+0] // swap Red Blk
v_xor_b32 v[vgprLocalWriteAddrB+0], 0x8000, v[vgprLocalWriteAddrB+0] // swap Red Blk

/* (EPS=1) local write swap internal offset -> 0 */

/* (EPS=1) local write swap internal offset -> 0 */
s_branch LoopEndL_2                                // exit unroll loopL (and skip second exit code)
LoopEndL_oddexit_3: // unroll loop odditer exit

/* Select high bank of LDS */
v_xor_b32 v[vgprLocalReadAddrA], 0x8000, v[vgprLocalReadAddrA] // swap Red Blk
v_xor_b32 v[vgprLocalReadAddrB], 0x8000, v[vgprLocalReadAddrB] // swap Red Blk
LoopEndL_2:


/* Before NLL: Check VGPR.checkin for INT8 LW */


/******************************************/
/* Ord. NoGlobalLoadLoop - Begin                                      */
/******************************************/



/* iter 0 (reset local read pointers iteration)  (swap and reset local write pointers iteration)  (swap local read pointers iteration)  */

/*  grEndMfmaIndex:13, lwStartMfmaIndex:13, lwEndMfmaIndex:13  */
/*  numMfmaForLR:15, barrierMfmaIndex:16, LocalWritePerMfma:4.000 */
/*  mfmaIndex:0  */
s_waitcnt lgkmcnt(0)                               // lgkmcnt=0 vmcnt=-1wait for prior local read local write old=0, new=0 newLW=0 newLR=0
/* pack scheduling: packAIdx:2, packBIdx:2 */
v_perm_b32 v[vgprValuA_X0_I0+0], v[vgprValuA_X0_I0_D1+0], v[vgprValuA_X0_I0_D0+0], s[sgprPackKForV0] // select K=01 for vector=0
v_perm_b32 v[vgprValuA_X0_I0+1], v[vgprValuA_X0_I0_D3+0], v[vgprValuA_X0_I0_D2+0], s[sgprPackKForV0] // select K=23 for vector=0
v_perm_b32 v[vgprValuB_X0_I0+0], v[vgprValuB_X0_I0_D1+0], v[vgprValuB_X0_I0_D0+0], s[sgprPackKForV0] // select K=01 for vector=0
v_perm_b32 v[vgprValuB_X0_I0+1], v[vgprValuB_X0_I0_D3+0], v[vgprValuB_X0_I0_D2+0], s[sgprPackKForV0] // select K=23 for vector=0
v_perm_b32 v[vgprValuA_X0_I0+2], v[vgprValuA_X0_I0_D1+0], v[vgprValuA_X0_I0_D0+0], s[sgprPackKForV1] // select K=01 for vector=1
v_perm_b32 v[vgprValuA_X0_I0+3], v[vgprValuA_X0_I0_D3+0], v[vgprValuA_X0_I0_D2+0], s[sgprPackKForV1] // select K=23 for vector=1
v_mfma_f32_16x16x16_f16 a[0+0:3+0], v[vgprValuB_X0_I0+0+0+0:vgprValuB_X0_I0+0+0+0+1], v[vgprValuA_X0_I0+0+0+0:vgprValuA_X0_I0+0+0+0+1], a[0:3]
/*  mfmaIndex:1  */
_ds_load_b64 v[vgprValuA_X1_I0_D0+0:vgprValuA_X1_I0_D0+0+1], v[vgprLocalReadAddrA] offset:4096 // L -> Reg lro=2048 swapByteOffset=0 ti=128 vIdx=0 rIdx=0 oIdx=0 buffer=1 iui=0

/* global read inc A loopL */
s_cmp_eq_u32 s[sgprLoopCounterL], s[sgprStaggerUIter] // Is this the wrapIter?
/* pack scheduling: packAIdx:4, packBIdx:2 */
v_perm_b32 v[vgprValuA_X0_I0+4], v[vgprValuA_X0_I0_D1+1], v[vgprValuA_X0_I0_D0+1], s[sgprPackKForV0] // select K=01 for vector=0
v_perm_b32 v[vgprValuA_X0_I0+5], v[vgprValuA_X0_I0_D3+1], v[vgprValuA_X0_I0_D2+1], s[sgprPackKForV0] // select K=23 for vector=0
v_mfma_f32_16x16x16_f16 a[4+0:7+0], v[vgprValuB_X0_I0+0+0+0:vgprValuB_X0_I0+0+0+0+1], v[vgprValuA_X0_I0+2+0+0:vgprValuA_X0_I0+2+0+0+1], a[4:7]
/*  mfmaIndex:2  */
_ds_load_b64 v[vgprValuA_X1_I0_D1+0:vgprValuA_X1_I0_D1+0+1], v[vgprLocalReadAddrA] offset:4352 // L -> Reg lro=2048 swapByteOffset=0 ti=128 vIdx=0 rIdx=1 oIdx=0 buffer=1 iui=0
s_cselect_b32 s58, s[sgprWrapUA+0], s[sgprGlobalReadIncsA+0] // incLower <- ?
/* pack scheduling: packAIdx:6, packBIdx:2 */
v_perm_b32 v[vgprValuA_X0_I0+6], v[vgprValuA_X0_I0_D1+1], v[vgprValuA_X0_I0_D0+1], s[sgprPackKForV1] // select K=01 for vector=1
v_perm_b32 v[vgprValuA_X0_I0+7], v[vgprValuA_X0_I0_D3+1], v[vgprValuA_X0_I0_D2+1], s[sgprPackKForV1] // select K=23 for vector=1
v_mfma_f32_16x16x16_f16 a[8+0:11+0], v[vgprValuB_X0_I0+0+0+0:vgprValuB_X0_I0+0+0+0+1], v[vgprValuA_X0_I0+4+0+0:vgprValuA_X0_I0+4+0+0+1], a[8:11]
/*  mfmaIndex:3  */
_ds_load_b64 v[vgprValuA_X1_I0_D2+0:vgprValuA_X1_I0_D2+0+1], v[vgprLocalReadAddrA] offset:4608 // L -> Reg lro=2048 swapByteOffset=0 ti=128 vIdx=0 rIdx=2 oIdx=0 buffer=1 iui=0
s_cselect_b32 s59, s[sgprWrapUA+1], 0              // incUpper <- ?
/* pack scheduling: packAIdx:8, packBIdx:2 */
v_perm_b32 v[vgprValuB_X0_I0+2], v[vgprValuB_X0_I0_D1+0], v[vgprValuB_X0_I0_D0+0], s[sgprPackKForV1] // select K=01 for vector=1
v_perm_b32 v[vgprValuB_X0_I0+3], v[vgprValuB_X0_I0_D3+0], v[vgprValuB_X0_I0_D2+0], s[sgprPackKForV1] // select K=23 for vector=1
v_mfma_f32_16x16x16_f16 a[12+0:15+0], v[vgprValuB_X0_I0+0+0+0:vgprValuB_X0_I0+0+0+0+1], v[vgprValuA_X0_I0+6+0+0:vgprValuA_X0_I0+6+0+0+1], a[12:15]
/*  mfmaIndex:4  */
_ds_load_b64 v[vgprValuA_X1_I0_D3+0:vgprValuA_X1_I0_D3+0+1], v[vgprLocalReadAddrA] offset:4864 // L -> Reg lro=2048 swapByteOffset=0 ti=128 vIdx=0 rIdx=3 oIdx=0 buffer=1 iui=0
s_add_u32 s[sgprSrdA+0], s[sgprSrdA+0], s58        // gra SRD += inc(lower)
/* pack scheduling: packAIdx:8, packBIdx:4 */
v_perm_b32 v[vgprValuB_X0_I0+4], v[vgprValuB_X0_I0_D1+1], v[vgprValuB_X0_I0_D0+1], s[sgprPackKForV0] // select K=01 for vector=0
v_perm_b32 v[vgprValuB_X0_I0+5], v[vgprValuB_X0_I0_D3+1], v[vgprValuB_X0_I0_D2+1], s[sgprPackKForV0] // select K=23 for vector=0
v_mfma_f32_16x16x16_f16 a[28+0:31+0], v[vgprValuB_X0_I0+2+0+0:vgprValuB_X0_I0+2+0+0+1], v[vgprValuA_X0_I0+6+0+0:vgprValuA_X0_I0+6+0+0+1], a[28:31]
/*  mfmaIndex:5  */
_ds_load_b32 v[vgprValuB_X1_I0_D0+0], v[vgprLocalReadAddrB] offset:4352 // L -> Reg lro=2048 swapByteOffset=0 ti=64 vIdx=0 rIdx=0 oIdx=0 buffer=1 iui=0
s_addc_u32  s[sgprSrdA+1], s[sgprSrdA+1], s59      // gra SRD += inc(upper)
/* pack scheduling: packAIdx:8, packBIdx:4 */
v_perm_b32 v[vgprValuB_X0_I0+6], v[vgprValuB_X0_I0_D1+1], v[vgprValuB_X0_I0_D0+1], s[sgprPackKForV1] // select K=01 for vector=1
v_perm_b32 v[vgprValuB_X0_I0+7], v[vgprValuB_X0_I0_D3+1], v[vgprValuB_X0_I0_D2+1], s[sgprPackKForV1] // select K=23 for vector=1
v_mfma_f32_16x16x16_f16 a[24+0:27+0], v[vgprValuB_X0_I0+2+0+0:vgprValuB_X0_I0+2+0+0+1], v[vgprValuA_X0_I0+4+0+0:vgprValuA_X0_I0+4+0+0+1], a[24:27]
/*  mfmaIndex:6  */
_ds_load_b32 v[vgprValuB_X1_I0_D1+0], v[vgprLocalReadAddrB] offset:4608 // L -> Reg lro=2048 swapByteOffset=0 ti=64 vIdx=0 rIdx=1 oIdx=0 buffer=1 iui=0
s_sub_u32 s[sgprShadowLimitA+0], s[sgprShadowLimitA+0], s58 // limit -= inc)
v_mfma_f32_16x16x16_f16 a[20+0:23+0], v[vgprValuB_X0_I0+2+0+0:vgprValuB_X0_I0+2+0+0+1], v[vgprValuA_X0_I0+2+0+0:vgprValuA_X0_I0+2+0+0+1], a[20:23]
/*  mfmaIndex:7  */
_ds_load_b32 v[vgprValuB_X1_I0_D2+0], v[vgprLocalReadAddrB] offset:4864 // L -> Reg lro=2048 swapByteOffset=0 ti=64 vIdx=0 rIdx=2 oIdx=0 buffer=1 iui=0
s_subb_u32 s[sgprShadowLimitA+1], s[sgprShadowLimitA+1], s59 // limit -= inc)
v_mfma_f32_16x16x16_f16 a[16+0:19+0], v[vgprValuB_X0_I0+2+0+0:vgprValuB_X0_I0+2+0+0+1], v[vgprValuA_X0_I0+0+0+0:vgprValuA_X0_I0+0+0+0+1], a[16:19]
/*  mfmaIndex:8  */
_ds_load_b32 v[vgprValuB_X1_I0_D3+0], v[vgprLocalReadAddrB] offset:5120 // L -> Reg lro=2048 swapByteOffset=0 ti=64 vIdx=0 rIdx=3 oIdx=0 buffer=1 iui=0
s_cmp_eq_u32 s[sgprShadowLimitA+1], 0              // are we within 2^32?
v_mfma_f32_16x16x16_f16 a[32+0:35+0], v[vgprValuB_X0_I0+4+0+0:vgprValuB_X0_I0+4+0+0+1], v[vgprValuA_X0_I0+0+0+0:vgprValuA_X0_I0+0+0+0+1], a[32:35]
/*  mfmaIndex:9  */
_ds_load_b32 v[vgprValuB_X1_I0_D0+1], v[vgprLocalReadAddrB] offset:4480 // L -> Reg lro=2048 swapByteOffset=0 ti=64 vIdx=1 rIdx=0 oIdx=0 buffer=1 iui=0
s_cselect_b32 s[sgprSrdA+2], s[sgprShadowLimitA+0], BufferLimitA // Move shadow to real if we are within 2^32
v_mfma_f32_16x16x16_f16 a[36+0:39+0], v[vgprValuB_X0_I0+4+0+0:vgprValuB_X0_I0+4+0+0+1], v[vgprValuA_X0_I0+2+0+0:vgprValuA_X0_I0+2+0+0+1], a[36:39]
/*  mfmaIndex:10  */
_ds_load_b32 v[vgprValuB_X1_I0_D1+1], v[vgprLocalReadAddrB] offset:4736 // L -> Reg lro=2048 swapByteOffset=0 ti=64 vIdx=1 rIdx=1 oIdx=0 buffer=1 iui=0

/* global read inc B loopL */
s_cmp_eq_u32 s[sgprLoopCounterL], s[sgprStaggerUIter] // Is this the wrapIter?
v_mfma_f32_16x16x16_f16 a[40+0:43+0], v[vgprValuB_X0_I0+4+0+0:vgprValuB_X0_I0+4+0+0+1], v[vgprValuA_X0_I0+4+0+0:vgprValuA_X0_I0+4+0+0+1], a[40:43]
/*  mfmaIndex:11  */
_ds_load_b32 v[vgprValuB_X1_I0_D2+1], v[vgprLocalReadAddrB] offset:4992 // L -> Reg lro=2048 swapByteOffset=0 ti=64 vIdx=1 rIdx=2 oIdx=0 buffer=1 iui=0
s_cselect_b32 s58, s[sgprWrapUB+0], s[sgprGlobalReadIncsB+0] // incLower <- ?
v_mfma_f32_16x16x16_f16 a[44+0:47+0], v[vgprValuB_X0_I0+4+0+0:vgprValuB_X0_I0+4+0+0+1], v[vgprValuA_X0_I0+6+0+0:vgprValuA_X0_I0+6+0+0+1], a[44:47]
/*  mfmaIndex:12  */
_ds_load_b32 v[vgprValuB_X1_I0_D3+1], v[vgprLocalReadAddrB] offset:5248 // L -> Reg lro=2048 swapByteOffset=0 ti=64 vIdx=1 rIdx=3 oIdx=0 buffer=1 iui=0
s_cselect_b32 s59, s[sgprWrapUB+1], 0              // incUpper <- ?
v_mfma_f32_16x16x16_f16 a[60+0:63+0], v[vgprValuB_X0_I0+6+0+0:vgprValuB_X0_I0+6+0+0+1], v[vgprValuA_X0_I0+6+0+0:vgprValuA_X0_I0+6+0+0+1], a[60:63]
/*  mfmaIndex:13  */
s_add_u32 s[sgprSrdB+0], s[sgprSrdB+0], s58        // gra SRD += inc(lower)
s_addc_u32  s[sgprSrdB+1], s[sgprSrdB+1], s59      // gra SRD += inc(upper)
s_sub_u32 s[sgprShadowLimitB+0], s[sgprShadowLimitB+0], s58 // limit -= inc)
s_subb_u32 s[sgprShadowLimitB+1], s[sgprShadowLimitB+1], s59 // limit -= inc)
s_cmp_eq_u32 s[sgprShadowLimitB+1], 0              // are we within 2^32?
s_cselect_b32 s[sgprSrdB+2], s[sgprShadowLimitB+0], BufferLimitB // Move shadow to real if we are within 2^32
/* sched write - iter 0 writesPerItem=1 */
s_waitcnt vmcnt(0)                                 // lgkmcnt=-1 vmcnt=0wait for global read before writing to local
_ds_store_b128 v[vgprLocalWriteAddrA], v[vgprG2LA+0:vgprG2LA+0+3] offset:0 // lwoA_0_0_0_0 = (0*LSCA) + (0*LSPA)(*MT0I+PAD) = 0
/* sched write - iter 0 writesPerItem=1 */
s_waitcnt vmcnt(0)                                 // lgkmcnt=-1 vmcnt=0wait for global read before writing to local
_ds_store_b128 v[vgprLocalWriteAddrA], v[vgprG2LA+4:vgprG2LA+4+3] offset:1024 // lwoA_0_0_1_0 = (0*LSCA) + (1*LSPA)(*MT0I+PAD) = 1024
/* sched write - iter 0 writesPerItem=1 */
s_waitcnt vmcnt(0)                                 // lgkmcnt=-1 vmcnt=0wait for global read before writing to local
_ds_store_b128 v[vgprLocalWriteAddrB], v[vgprG2LB+0:vgprG2LB+0+3] offset:0 // lwoB_0_0_0_0 = (0*LSCB) + (0*LSPB)(*MT1J+PAD) = 0
/* sched write - iter 0 writesPerItem=1 */
s_waitcnt vmcnt(0)                                 // lgkmcnt=-1 vmcnt=0wait for global read before writing to local
_ds_store_b128 v[vgprLocalWriteAddrB], v[vgprG2LB+4:vgprG2LB+4+3] offset:4352 // lwoB_0_0_1_0 = (0*LSCB) + (1*LSPB)(*MT1J+PAD) = 4352

/* local write swap offsets a */

/* (EPS=1) local write swap internal offset -> 32768 */

/* local write swap offsets b */

/* (EPS=1) local write swap internal offset -> 32768 */
v_mfma_f32_16x16x16_f16 a[56+0:59+0], v[vgprValuB_X0_I0+6+0+0:vgprValuB_X0_I0+6+0+0+1], v[vgprValuA_X0_I0+4+0+0:vgprValuA_X0_I0+4+0+0+1], a[56:59]
/*  mfmaIndex:14  */
/* localReadsVacancy: latencyLeft 2 */
v_mfma_f32_16x16x16_f16 a[52+0:55+0], v[vgprValuB_X0_I0+6+0+0:vgprValuB_X0_I0+6+0+0+1], v[vgprValuA_X0_I0+2+0+0:vgprValuA_X0_I0+2+0+0+1], a[52:55]
/*  mfmaIndex:15  */
/* localReadsVacancy: latencyLeft 2 */

/* local read swap offsets a */
v_xor_b32 v[vgprLocalReadAddrA], 0x8000, v[vgprLocalReadAddrA] // swap Red Blk

/* local read swap offsets b */
v_xor_b32 v[vgprLocalReadAddrB], 0x8000, v[vgprLocalReadAddrB] // swap Red Blk

/* local read init pointers a */

/* localReadInitPointers */

/* local read init pointers b */

/* localReadInitPointers */
v_mfma_f32_16x16x16_f16 a[48+0:51+0], v[vgprValuB_X0_I0+6+0+0:vgprValuB_X0_I0+6+0+0+1], v[vgprValuA_X0_I0+0+0+0:vgprValuA_X0_I0+0+0+0+1], a[48:51]
/* numPrefetchIter=0 */
/* dataAtIterA=-1 numReadsIterA=1 skipReadsIterA=1 readsPerIterA=4 */
/* dataAtIterB=-1 numReadsIterB=1 skipReadsIterB=1 readsPerIterB=8 */


/* iter 1 */

/*  grEndMfmaIndex:13, lwStartMfmaIndex:13, lwEndMfmaIndex:13  */
/*  numMfmaForLR:15, barrierMfmaIndex:16, LocalWritePerMfma:4.000 */
/*  mfmaIndex:16  */
s_waitcnt lgkmcnt(0)                               // lgkmcnt=0 vmcnt=-13wait for local write
// Skip force waitcnt0
s_barrier //
s_waitcnt lgkmcnt(4)                               // lgkmcnt=0 vmcnt=-1wait for prior local read local write old=0, new=4 newLW=4 newLR=0
/* pack scheduling: packAIdx:2, packBIdx:2 */
v_perm_b32 v[vgprValuA_X1_I0+0], v[vgprValuA_X1_I0_D1+0], v[vgprValuA_X1_I0_D0+0], s[sgprPackKForV0] // select K=01 for vector=0
v_perm_b32 v[vgprValuA_X1_I0+1], v[vgprValuA_X1_I0_D3+0], v[vgprValuA_X1_I0_D2+0], s[sgprPackKForV0] // select K=23 for vector=0
v_perm_b32 v[vgprValuB_X1_I0+0], v[vgprValuB_X1_I0_D1+0], v[vgprValuB_X1_I0_D0+0], s[sgprPackKForV0] // select K=01 for vector=0
v_perm_b32 v[vgprValuB_X1_I0+1], v[vgprValuB_X1_I0_D3+0], v[vgprValuB_X1_I0_D2+0], s[sgprPackKForV0] // select K=23 for vector=0
v_perm_b32 v[vgprValuA_X1_I0+2], v[vgprValuA_X1_I0_D1+0], v[vgprValuA_X1_I0_D0+0], s[sgprPackKForV1] // select K=01 for vector=1
v_perm_b32 v[vgprValuA_X1_I0+3], v[vgprValuA_X1_I0_D3+0], v[vgprValuA_X1_I0_D2+0], s[sgprPackKForV1] // select K=23 for vector=1
v_mfma_f32_16x16x16_f16 a[0+0:3+0], v[vgprValuB_X1_I0+0+0+0:vgprValuB_X1_I0+0+0+0+1], v[vgprValuA_X1_I0+0+0+0:vgprValuA_X1_I0+0+0+0+1], a[0:3]
/*  mfmaIndex:17  */
_ds_load_b64 v[vgprValuA_X0_I0_D0+0:vgprValuA_X0_I0_D0+0+1], v[vgprLocalReadAddrA] offset:0 // L -> Reg lro=0 swapByteOffset=0 ti=128 vIdx=0 rIdx=0 oIdx=0 buffer=0 iui=0
/* pack scheduling: packAIdx:4, packBIdx:2 */
v_perm_b32 v[vgprValuA_X1_I0+4], v[vgprValuA_X1_I0_D1+1], v[vgprValuA_X1_I0_D0+1], s[sgprPackKForV0] // select K=01 for vector=0
v_perm_b32 v[vgprValuA_X1_I0+5], v[vgprValuA_X1_I0_D3+1], v[vgprValuA_X1_I0_D2+1], s[sgprPackKForV0] // select K=23 for vector=0
v_mfma_f32_16x16x16_f16 a[4+0:7+0], v[vgprValuB_X1_I0+0+0+0:vgprValuB_X1_I0+0+0+0+1], v[vgprValuA_X1_I0+2+0+0:vgprValuA_X1_I0+2+0+0+1], a[4:7]
/*  mfmaIndex:18  */
_ds_load_b64 v[vgprValuA_X0_I0_D1+0:vgprValuA_X0_I0_D1+0+1], v[vgprLocalReadAddrA] offset:256 // L -> Reg lro=0 swapByteOffset=0 ti=128 vIdx=0 rIdx=1 oIdx=0 buffer=0 iui=0
/* pack scheduling: packAIdx:6, packBIdx:2 */
v_perm_b32 v[vgprValuA_X1_I0+6], v[vgprValuA_X1_I0_D1+1], v[vgprValuA_X1_I0_D0+1], s[sgprPackKForV1] // select K=01 for vector=1
v_perm_b32 v[vgprValuA_X1_I0+7], v[vgprValuA_X1_I0_D3+1], v[vgprValuA_X1_I0_D2+1], s[sgprPackKForV1] // select K=23 for vector=1
v_mfma_f32_16x16x16_f16 a[8+0:11+0], v[vgprValuB_X1_I0+0+0+0:vgprValuB_X1_I0+0+0+0+1], v[vgprValuA_X1_I0+4+0+0:vgprValuA_X1_I0+4+0+0+1], a[8:11]
/*  mfmaIndex:19  */
_ds_load_b64 v[vgprValuA_X0_I0_D2+0:vgprValuA_X0_I0_D2+0+1], v[vgprLocalReadAddrA] offset:512 // L -> Reg lro=0 swapByteOffset=0 ti=128 vIdx=0 rIdx=2 oIdx=0 buffer=0 iui=0
/* pack scheduling: packAIdx:8, packBIdx:2 */
v_perm_b32 v[vgprValuB_X1_I0+2], v[vgprValuB_X1_I0_D1+0], v[vgprValuB_X1_I0_D0+0], s[sgprPackKForV1] // select K=01 for vector=1
v_perm_b32 v[vgprValuB_X1_I0+3], v[vgprValuB_X1_I0_D3+0], v[vgprValuB_X1_I0_D2+0], s[sgprPackKForV1] // select K=23 for vector=1
v_mfma_f32_16x16x16_f16 a[12+0:15+0], v[vgprValuB_X1_I0+0+0+0:vgprValuB_X1_I0+0+0+0+1], v[vgprValuA_X1_I0+6+0+0:vgprValuA_X1_I0+6+0+0+1], a[12:15]
/*  mfmaIndex:20  */
_ds_load_b64 v[vgprValuA_X0_I0_D3+0:vgprValuA_X0_I0_D3+0+1], v[vgprLocalReadAddrA] offset:768 // L -> Reg lro=0 swapByteOffset=0 ti=128 vIdx=0 rIdx=3 oIdx=0 buffer=0 iui=0
/* pack scheduling: packAIdx:8, packBIdx:4 */
v_perm_b32 v[vgprValuB_X1_I0+4], v[vgprValuB_X1_I0_D1+1], v[vgprValuB_X1_I0_D0+1], s[sgprPackKForV0] // select K=01 for vector=0
v_perm_b32 v[vgprValuB_X1_I0+5], v[vgprValuB_X1_I0_D3+1], v[vgprValuB_X1_I0_D2+1], s[sgprPackKForV0] // select K=23 for vector=0
v_mfma_f32_16x16x16_f16 a[28+0:31+0], v[vgprValuB_X1_I0+2+0+0:vgprValuB_X1_I0+2+0+0+1], v[vgprValuA_X1_I0+6+0+0:vgprValuA_X1_I0+6+0+0+1], a[28:31]
/*  mfmaIndex:21  */
_ds_load_b32 v[vgprValuB_X0_I0_D0+0], v[vgprLocalReadAddrB] offset:0 // L -> Reg lro=0 swapByteOffset=0 ti=64 vIdx=0 rIdx=0 oIdx=0 buffer=0 iui=0
/* pack scheduling: packAIdx:8, packBIdx:4 */
v_perm_b32 v[vgprValuB_X1_I0+6], v[vgprValuB_X1_I0_D1+1], v[vgprValuB_X1_I0_D0+1], s[sgprPackKForV1] // select K=01 for vector=1
v_perm_b32 v[vgprValuB_X1_I0+7], v[vgprValuB_X1_I0_D3+1], v[vgprValuB_X1_I0_D2+1], s[sgprPackKForV1] // select K=23 for vector=1
v_mfma_f32_16x16x16_f16 a[24+0:27+0], v[vgprValuB_X1_I0+2+0+0:vgprValuB_X1_I0+2+0+0+1], v[vgprValuA_X1_I0+4+0+0:vgprValuA_X1_I0+4+0+0+1], a[24:27]
/*  mfmaIndex:22  */
_ds_load_b32 v[vgprValuB_X0_I0_D1+0], v[vgprLocalReadAddrB] offset:256 // L -> Reg lro=0 swapByteOffset=0 ti=64 vIdx=0 rIdx=1 oIdx=0 buffer=0 iui=0
v_mfma_f32_16x16x16_f16 a[20+0:23+0], v[vgprValuB_X1_I0+2+0+0:vgprValuB_X1_I0+2+0+0+1], v[vgprValuA_X1_I0+2+0+0:vgprValuA_X1_I0+2+0+0+1], a[20:23]
/*  mfmaIndex:23  */
_ds_load_b32 v[vgprValuB_X0_I0_D2+0], v[vgprLocalReadAddrB] offset:512 // L -> Reg lro=0 swapByteOffset=0 ti=64 vIdx=0 rIdx=2 oIdx=0 buffer=0 iui=0
v_mfma_f32_16x16x16_f16 a[16+0:19+0], v[vgprValuB_X1_I0+2+0+0:vgprValuB_X1_I0+2+0+0+1], v[vgprValuA_X1_I0+0+0+0:vgprValuA_X1_I0+0+0+0+1], a[16:19]
/*  mfmaIndex:24  */
_ds_load_b32 v[vgprValuB_X0_I0_D3+0], v[vgprLocalReadAddrB] offset:768 // L -> Reg lro=0 swapByteOffset=0 ti=64 vIdx=0 rIdx=3 oIdx=0 buffer=0 iui=0
v_mfma_f32_16x16x16_f16 a[32+0:35+0], v[vgprValuB_X1_I0+4+0+0:vgprValuB_X1_I0+4+0+0+1], v[vgprValuA_X1_I0+0+0+0:vgprValuA_X1_I0+0+0+0+1], a[32:35]
/*  mfmaIndex:25  */
_ds_load_b32 v[vgprValuB_X0_I0_D0+1], v[vgprLocalReadAddrB] offset:128 // L -> Reg lro=0 swapByteOffset=0 ti=64 vIdx=1 rIdx=0 oIdx=0 buffer=0 iui=0
v_mfma_f32_16x16x16_f16 a[36+0:39+0], v[vgprValuB_X1_I0+4+0+0:vgprValuB_X1_I0+4+0+0+1], v[vgprValuA_X1_I0+2+0+0:vgprValuA_X1_I0+2+0+0+1], a[36:39]
/*  mfmaIndex:26  */
_ds_load_b32 v[vgprValuB_X0_I0_D1+1], v[vgprLocalReadAddrB] offset:384 // L -> Reg lro=0 swapByteOffset=0 ti=64 vIdx=1 rIdx=1 oIdx=0 buffer=0 iui=0
v_mfma_f32_16x16x16_f16 a[40+0:43+0], v[vgprValuB_X1_I0+4+0+0:vgprValuB_X1_I0+4+0+0+1], v[vgprValuA_X1_I0+4+0+0:vgprValuA_X1_I0+4+0+0+1], a[40:43]
/*  mfmaIndex:27  */
_ds_load_b32 v[vgprValuB_X0_I0_D2+1], v[vgprLocalReadAddrB] offset:640 // L -> Reg lro=0 swapByteOffset=0 ti=64 vIdx=1 rIdx=2 oIdx=0 buffer=0 iui=0
v_mfma_f32_16x16x16_f16 a[44+0:47+0], v[vgprValuB_X1_I0+4+0+0:vgprValuB_X1_I0+4+0+0+1], v[vgprValuA_X1_I0+6+0+0:vgprValuA_X1_I0+6+0+0+1], a[44:47]
/*  mfmaIndex:28  */
_ds_load_b32 v[vgprValuB_X0_I0_D3+1], v[vgprLocalReadAddrB] offset:896 // L -> Reg lro=0 swapByteOffset=0 ti=64 vIdx=1 rIdx=3 oIdx=0 buffer=0 iui=0
v_mfma_f32_16x16x16_f16 a[60+0:63+0], v[vgprValuB_X1_I0+6+0+0:vgprValuB_X1_I0+6+0+0+1], v[vgprValuA_X1_I0+6+0+0:vgprValuA_X1_I0+6+0+0+1], a[60:63]
/*  mfmaIndex:29  */
v_mfma_f32_16x16x16_f16 a[56+0:59+0], v[vgprValuB_X1_I0+6+0+0:vgprValuB_X1_I0+6+0+0+1], v[vgprValuA_X1_I0+4+0+0:vgprValuA_X1_I0+4+0+0+1], a[56:59]
/*  mfmaIndex:30  */
	;; [unrolled: 2-line block ×3, first 2 shown]
v_mfma_f32_16x16x16_f16 a[48+0:51+0], v[vgprValuB_X1_I0+6+0+0:vgprValuB_X1_I0+6+0+0+1], v[vgprValuA_X1_I0+0+0+0:vgprValuA_X1_I0+0+0+0+1], a[48:51]
/* numPrefetchIter=1 */
/* dataAtIterA=0 numReadsIterA=1 skipReadsIterA=1 readsPerIterA=4 */
/* dataAtIterB=0 numReadsIterB=1 skipReadsIterB=1 readsPerIterB=8 */

label_0014:


/******************************************/
/* Opt. NoLoadLoop Without PAP - Begin                                      */
/******************************************/

s_cmpk_eq_u32 s[sgprBeta], 0x0                     // Beta == 0
s_cbranch_scc0 OptNLL_End_17                       // Branch if Beta is not zero

s_cmp_eq_u32 s[sgprAlpha], 1.0                     // Alpha == 1.0 ?
s_cbranch_scc0 OptNLL_End_17                       // branch if alpha != 1

s_and_b32 s58, 127, s[sgprSizeI]                   // s58 = s[sgprSizeI] % 128
s_add_u32 s59, -0x1, s[sgprNumWorkGroups0]         // 
s_cmp_ge_u32 s[sgprWorkGroup0], s59                // wg0 >= nwg0-1 ?
s_cselect_b32 s58, s58, 0                          // set rMT0
s_cmpk_gt_u32 s58, 0x0                             // rMT0 > 0
s_cbranch_scc1 OptNLL_End_17                       // jump if edges required
s_and_b32 s58, 127, s[sgprSizeJ]                   // s58 = s[sgprSizeJ] % 128
s_add_u32 s59, -0x1, s[sgprNumWorkGroups1]         // 
s_cmp_ge_u32 s[sgprWorkGroup1], s59                // wg1 >= nwg1-1
s_cselect_b32 s58, s58, 0                          // set rMT1
s_cmpk_gt_u32 s58, 0x0                             // rMT1 > 0
s_cbranch_scc1 OptNLL_End_17                       // jump if edges required

s_and_b32 s59, 31, s[sgprSizesSum+0]               // s59 = s[sgprSizesSum+0] % 32
s_cmp_eq_u32 s59, 0x0                              // numIterL == 0
s_cbranch_scc0 OptNLL_End_17                       // skip if tail loop required


	;; [unrolled: 1-line block ×3, first 2 shown]
/* iter 0 (last unrolled loop) */

/*  grEndMfmaIndex:0, lwStartMfmaIndex:13, lwEndMfmaIndex:13  */
/*  numMfmaForLR:15, barrierMfmaIndex:16, LocalWritePerMfma:4.000 */
/*  mfmaIndex:0  */
s_waitcnt lgkmcnt(0)                               // lgkmcnt=0 vmcnt=-1wait for prior local read local write old=0, new=0 newLW=0 newLR=0
/* pack scheduling: packAIdx:2, packBIdx:2 */
v_perm_b32 v[vgprValuA_X0_I0+0], v[vgprValuA_X0_I0_D1+0], v[vgprValuA_X0_I0_D0+0], s[sgprPackKForV0] // select K=01 for vector=0
v_perm_b32 v[vgprValuA_X0_I0+1], v[vgprValuA_X0_I0_D3+0], v[vgprValuA_X0_I0_D2+0], s[sgprPackKForV0] // select K=23 for vector=0
v_perm_b32 v[vgprValuB_X0_I0+0], v[vgprValuB_X0_I0_D1+0], v[vgprValuB_X0_I0_D0+0], s[sgprPackKForV0] // select K=01 for vector=0
v_perm_b32 v[vgprValuB_X0_I0+1], v[vgprValuB_X0_I0_D3+0], v[vgprValuB_X0_I0_D2+0], s[sgprPackKForV0] // select K=23 for vector=0
v_perm_b32 v[vgprValuA_X0_I0+2], v[vgprValuA_X0_I0_D1+0], v[vgprValuA_X0_I0_D0+0], s[sgprPackKForV1] // select K=01 for vector=1
v_perm_b32 v[vgprValuA_X0_I0+3], v[vgprValuA_X0_I0_D3+0], v[vgprValuA_X0_I0_D2+0], s[sgprPackKForV1] // select K=23 for vector=1
v_mfma_f32_16x16x16_f16 a[0+0:3+0], v[vgprValuB_X0_I0+0+0+0:vgprValuB_X0_I0+0+0+0+1], v[vgprValuA_X0_I0+0+0+0:vgprValuA_X0_I0+0+0+0+1], a[0:3]
/*  mfmaIndex:1  */
_ds_load_b64 v[vgprValuA_X1_I0_D0+0:vgprValuA_X1_I0_D0+0+1], v[vgprLocalReadAddrA] offset:4096 // L -> Reg lro=2048 swapByteOffset=0 ti=128 vIdx=0 rIdx=0 oIdx=0 buffer=1 iui=0
/* pack scheduling: packAIdx:4, packBIdx:2 */
v_perm_b32 v[vgprValuA_X0_I0+4], v[vgprValuA_X0_I0_D1+1], v[vgprValuA_X0_I0_D0+1], s[sgprPackKForV0] // select K=01 for vector=0
v_perm_b32 v[vgprValuA_X0_I0+5], v[vgprValuA_X0_I0_D3+1], v[vgprValuA_X0_I0_D2+1], s[sgprPackKForV0] // select K=23 for vector=0
v_mfma_f32_16x16x16_f16 a[4+0:7+0], v[vgprValuB_X0_I0+0+0+0:vgprValuB_X0_I0+0+0+0+1], v[vgprValuA_X0_I0+2+0+0:vgprValuA_X0_I0+2+0+0+1], a[4:7]
/*  mfmaIndex:2  */
_ds_load_b64 v[vgprValuA_X1_I0_D1+0:vgprValuA_X1_I0_D1+0+1], v[vgprLocalReadAddrA] offset:4352 // L -> Reg lro=2048 swapByteOffset=0 ti=128 vIdx=0 rIdx=1 oIdx=0 buffer=1 iui=0
/* pack scheduling: packAIdx:6, packBIdx:2 */
v_perm_b32 v[vgprValuA_X0_I0+6], v[vgprValuA_X0_I0_D1+1], v[vgprValuA_X0_I0_D0+1], s[sgprPackKForV1] // select K=01 for vector=1
v_perm_b32 v[vgprValuA_X0_I0+7], v[vgprValuA_X0_I0_D3+1], v[vgprValuA_X0_I0_D2+1], s[sgprPackKForV1] // select K=23 for vector=1
v_mfma_f32_16x16x16_f16 a[8+0:11+0], v[vgprValuB_X0_I0+0+0+0:vgprValuB_X0_I0+0+0+0+1], v[vgprValuA_X0_I0+4+0+0:vgprValuA_X0_I0+4+0+0+1], a[8:11]
/*  mfmaIndex:3  */
_ds_load_b64 v[vgprValuA_X1_I0_D2+0:vgprValuA_X1_I0_D2+0+1], v[vgprLocalReadAddrA] offset:4608 // L -> Reg lro=2048 swapByteOffset=0 ti=128 vIdx=0 rIdx=2 oIdx=0 buffer=1 iui=0
/* pack scheduling: packAIdx:8, packBIdx:2 */
v_perm_b32 v[vgprValuB_X0_I0+2], v[vgprValuB_X0_I0_D1+0], v[vgprValuB_X0_I0_D0+0], s[sgprPackKForV1] // select K=01 for vector=1
v_perm_b32 v[vgprValuB_X0_I0+3], v[vgprValuB_X0_I0_D3+0], v[vgprValuB_X0_I0_D2+0], s[sgprPackKForV1] // select K=23 for vector=1
v_mfma_f32_16x16x16_f16 a[12+0:15+0], v[vgprValuB_X0_I0+0+0+0:vgprValuB_X0_I0+0+0+0+1], v[vgprValuA_X0_I0+6+0+0:vgprValuA_X0_I0+6+0+0+1], a[12:15]
/*  mfmaIndex:4  */
_ds_load_b64 v[vgprValuA_X1_I0_D3+0:vgprValuA_X1_I0_D3+0+1], v[vgprLocalReadAddrA] offset:4864 // L -> Reg lro=2048 swapByteOffset=0 ti=128 vIdx=0 rIdx=3 oIdx=0 buffer=1 iui=0
/* pack scheduling: packAIdx:8, packBIdx:4 */
v_perm_b32 v[vgprValuB_X0_I0+4], v[vgprValuB_X0_I0_D1+1], v[vgprValuB_X0_I0_D0+1], s[sgprPackKForV0] // select K=01 for vector=0
v_perm_b32 v[vgprValuB_X0_I0+5], v[vgprValuB_X0_I0_D3+1], v[vgprValuB_X0_I0_D2+1], s[sgprPackKForV0] // select K=23 for vector=0
v_mfma_f32_16x16x16_f16 a[28+0:31+0], v[vgprValuB_X0_I0+2+0+0:vgprValuB_X0_I0+2+0+0+1], v[vgprValuA_X0_I0+6+0+0:vgprValuA_X0_I0+6+0+0+1], a[28:31]
/*  mfmaIndex:5  */
_ds_load_b32 v[vgprValuB_X1_I0_D0+0], v[vgprLocalReadAddrB] offset:4352 // L -> Reg lro=2048 swapByteOffset=0 ti=64 vIdx=0 rIdx=0 oIdx=0 buffer=1 iui=0
/* pack scheduling: packAIdx:8, packBIdx:4 */
v_perm_b32 v[vgprValuB_X0_I0+6], v[vgprValuB_X0_I0_D1+1], v[vgprValuB_X0_I0_D0+1], s[sgprPackKForV1] // select K=01 for vector=1
v_perm_b32 v[vgprValuB_X0_I0+7], v[vgprValuB_X0_I0_D3+1], v[vgprValuB_X0_I0_D2+1], s[sgprPackKForV1] // select K=23 for vector=1
v_mfma_f32_16x16x16_f16 a[24+0:27+0], v[vgprValuB_X0_I0+2+0+0:vgprValuB_X0_I0+2+0+0+1], v[vgprValuA_X0_I0+4+0+0:vgprValuA_X0_I0+4+0+0+1], a[24:27]
/*  mfmaIndex:6  */
_ds_load_b32 v[vgprValuB_X1_I0_D1+0], v[vgprLocalReadAddrB] offset:4608 // L -> Reg lro=2048 swapByteOffset=0 ti=64 vIdx=0 rIdx=1 oIdx=0 buffer=1 iui=0
v_mfma_f32_16x16x16_f16 a[20+0:23+0], v[vgprValuB_X0_I0+2+0+0:vgprValuB_X0_I0+2+0+0+1], v[vgprValuA_X0_I0+2+0+0:vgprValuA_X0_I0+2+0+0+1], a[20:23]
/*  mfmaIndex:7  */
_ds_load_b32 v[vgprValuB_X1_I0_D2+0], v[vgprLocalReadAddrB] offset:4864 // L -> Reg lro=2048 swapByteOffset=0 ti=64 vIdx=0 rIdx=2 oIdx=0 buffer=1 iui=0
v_mfma_f32_16x16x16_f16 a[16+0:19+0], v[vgprValuB_X0_I0+2+0+0:vgprValuB_X0_I0+2+0+0+1], v[vgprValuA_X0_I0+0+0+0:vgprValuA_X0_I0+0+0+0+1], a[16:19]
/*  mfmaIndex:8  */
_ds_load_b32 v[vgprValuB_X1_I0_D3+0], v[vgprLocalReadAddrB] offset:5120 // L -> Reg lro=2048 swapByteOffset=0 ti=64 vIdx=0 rIdx=3 oIdx=0 buffer=1 iui=0
v_mfma_f32_16x16x16_f16 a[32+0:35+0], v[vgprValuB_X0_I0+4+0+0:vgprValuB_X0_I0+4+0+0+1], v[vgprValuA_X0_I0+0+0+0:vgprValuA_X0_I0+0+0+0+1], a[32:35]
/*  mfmaIndex:9  */
_ds_load_b32 v[vgprValuB_X1_I0_D0+1], v[vgprLocalReadAddrB] offset:4480 // L -> Reg lro=2048 swapByteOffset=0 ti=64 vIdx=1 rIdx=0 oIdx=0 buffer=1 iui=0
v_mfma_f32_16x16x16_f16 a[36+0:39+0], v[vgprValuB_X0_I0+4+0+0:vgprValuB_X0_I0+4+0+0+1], v[vgprValuA_X0_I0+2+0+0:vgprValuA_X0_I0+2+0+0+1], a[36:39]
/*  mfmaIndex:10  */
_ds_load_b32 v[vgprValuB_X1_I0_D1+1], v[vgprLocalReadAddrB] offset:4736 // L -> Reg lro=2048 swapByteOffset=0 ti=64 vIdx=1 rIdx=1 oIdx=0 buffer=1 iui=0
v_mfma_f32_16x16x16_f16 a[40+0:43+0], v[vgprValuB_X0_I0+4+0+0:vgprValuB_X0_I0+4+0+0+1], v[vgprValuA_X0_I0+4+0+0:vgprValuA_X0_I0+4+0+0+1], a[40:43]
/*  mfmaIndex:11  */
_ds_load_b32 v[vgprValuB_X1_I0_D2+1], v[vgprLocalReadAddrB] offset:4992 // L -> Reg lro=2048 swapByteOffset=0 ti=64 vIdx=1 rIdx=2 oIdx=0 buffer=1 iui=0
v_mfma_f32_16x16x16_f16 a[44+0:47+0], v[vgprValuB_X0_I0+4+0+0:vgprValuB_X0_I0+4+0+0+1], v[vgprValuA_X0_I0+6+0+0:vgprValuA_X0_I0+6+0+0+1], a[44:47]
/*  mfmaIndex:12  */
_ds_load_b32 v[vgprValuB_X1_I0_D3+1], v[vgprLocalReadAddrB] offset:5248 // L -> Reg lro=2048 swapByteOffset=0 ti=64 vIdx=1 rIdx=3 oIdx=0 buffer=1 iui=0
v_mfma_f32_16x16x16_f16 a[60+0:63+0], v[vgprValuB_X0_I0+6+0+0:vgprValuB_X0_I0+6+0+0+1], v[vgprValuA_X0_I0+6+0+0:vgprValuA_X0_I0+6+0+0+1], a[60:63]
/*  mfmaIndex:13  */
/* localReadsVacancy: latencyLeft 2 */
v_mfma_f32_16x16x16_f16 a[56+0:59+0], v[vgprValuB_X0_I0+6+0+0:vgprValuB_X0_I0+6+0+0+1], v[vgprValuA_X0_I0+4+0+0:vgprValuA_X0_I0+4+0+0+1], a[56:59]
/*  mfmaIndex:14  */
/* localReadsVacancy: latencyLeft 2 */
	;; [unrolled: 3-line block ×3, first 2 shown]
v_mfma_f32_16x16x16_f16 a[48+0:51+0], v[vgprValuB_X0_I0+6+0+0:vgprValuB_X0_I0+6+0+0+1], v[vgprValuA_X0_I0+0+0+0:vgprValuA_X0_I0+0+0+0+1], a[48:51]
/* numPrefetchIter=0 */
/* dataAtIterA=-1 numReadsIterA=1 skipReadsIterA=1 readsPerIterA=4 */
/* dataAtIterB=-1 numReadsIterB=1 skipReadsIterB=1 readsPerIterB=8 */


/* iter 1 (last unrolled loop) */

/*  grEndMfmaIndex:0, lwStartMfmaIndex:13, lwEndMfmaIndex:13  */
/*  numMfmaForLR:15, barrierMfmaIndex:16, LocalWritePerMfma:4.000 */
/*  mfmaIndex:16  */
s_waitcnt lgkmcnt(0)                               // lgkmcnt=0 vmcnt=-1wait for prior local read local write old=0, new=0 newLW=0 newLR=0
/* pack scheduling: packAIdx:2, packBIdx:2 */
v_perm_b32 v[vgprValuA_X1_I0+0], v[vgprValuA_X1_I0_D1+0], v[vgprValuA_X1_I0_D0+0], s[sgprPackKForV0] // select K=01 for vector=0
v_perm_b32 v[vgprValuA_X1_I0+1], v[vgprValuA_X1_I0_D3+0], v[vgprValuA_X1_I0_D2+0], s[sgprPackKForV0] // select K=23 for vector=0
v_perm_b32 v[vgprValuB_X1_I0+0], v[vgprValuB_X1_I0_D1+0], v[vgprValuB_X1_I0_D0+0], s[sgprPackKForV0] // select K=01 for vector=0
v_perm_b32 v[vgprValuB_X1_I0+1], v[vgprValuB_X1_I0_D3+0], v[vgprValuB_X1_I0_D2+0], s[sgprPackKForV0] // select K=23 for vector=0
v_perm_b32 v[vgprValuA_X1_I0+2], v[vgprValuA_X1_I0_D1+0], v[vgprValuA_X1_I0_D0+0], s[sgprPackKForV1] // select K=01 for vector=1
v_perm_b32 v[vgprValuA_X1_I0+3], v[vgprValuA_X1_I0_D3+0], v[vgprValuA_X1_I0_D2+0], s[sgprPackKForV1] // select K=23 for vector=1
v_mfma_f32_16x16x16_f16 a[0+0:3+0], v[vgprValuB_X1_I0+0+0+0:vgprValuB_X1_I0+0+0+0+1], v[vgprValuA_X1_I0+0+0+0:vgprValuA_X1_I0+0+0+0+1], a[0:3]
/*  mfmaIndex:17  */
/* pack scheduling: packAIdx:4, packBIdx:2 */
v_perm_b32 v[vgprValuA_X1_I0+4], v[vgprValuA_X1_I0_D1+1], v[vgprValuA_X1_I0_D0+1], s[sgprPackKForV0] // select K=01 for vector=0
v_perm_b32 v[vgprValuA_X1_I0+5], v[vgprValuA_X1_I0_D3+1], v[vgprValuA_X1_I0_D2+1], s[sgprPackKForV0] // select K=23 for vector=0
v_mfma_f32_16x16x16_f16 a[4+0:7+0], v[vgprValuB_X1_I0+0+0+0:vgprValuB_X1_I0+0+0+0+1], v[vgprValuA_X1_I0+2+0+0:vgprValuA_X1_I0+2+0+0+1], a[4:7]
/*  mfmaIndex:18  */
/* pack scheduling: packAIdx:6, packBIdx:2 */
v_perm_b32 v[vgprValuA_X1_I0+6], v[vgprValuA_X1_I0_D1+1], v[vgprValuA_X1_I0_D0+1], s[sgprPackKForV1] // select K=01 for vector=1
v_perm_b32 v[vgprValuA_X1_I0+7], v[vgprValuA_X1_I0_D3+1], v[vgprValuA_X1_I0_D2+1], s[sgprPackKForV1] // select K=23 for vector=1
v_mfma_f32_16x16x16_f16 a[8+0:11+0], v[vgprValuB_X1_I0+0+0+0:vgprValuB_X1_I0+0+0+0+1], v[vgprValuA_X1_I0+4+0+0:vgprValuA_X1_I0+4+0+0+1], a[8:11]
/*  mfmaIndex:19  */
/* pack scheduling: packAIdx:8, packBIdx:2 */
v_perm_b32 v[vgprValuB_X1_I0+2], v[vgprValuB_X1_I0_D1+0], v[vgprValuB_X1_I0_D0+0], s[sgprPackKForV1] // select K=01 for vector=1
v_perm_b32 v[vgprValuB_X1_I0+3], v[vgprValuB_X1_I0_D3+0], v[vgprValuB_X1_I0_D2+0], s[sgprPackKForV1] // select K=23 for vector=1
v_mfma_f32_16x16x16_f16 a[12+0:15+0], v[vgprValuB_X1_I0+0+0+0:vgprValuB_X1_I0+0+0+0+1], v[vgprValuA_X1_I0+6+0+0:vgprValuA_X1_I0+6+0+0+1], a[12:15]
/*  mfmaIndex:20  */
/* pack scheduling: packAIdx:8, packBIdx:4 */
v_perm_b32 v[vgprValuB_X1_I0+4], v[vgprValuB_X1_I0_D1+1], v[vgprValuB_X1_I0_D0+1], s[sgprPackKForV0] // select K=01 for vector=0
v_perm_b32 v[vgprValuB_X1_I0+5], v[vgprValuB_X1_I0_D3+1], v[vgprValuB_X1_I0_D2+1], s[sgprPackKForV0] // select K=23 for vector=0
v_mfma_f32_16x16x16_f16 a[28+0:31+0], v[vgprValuB_X1_I0+2+0+0:vgprValuB_X1_I0+2+0+0+1], v[vgprValuA_X1_I0+6+0+0:vgprValuA_X1_I0+6+0+0+1], a[28:31]
/*  mfmaIndex:21  */
/* pack scheduling: packAIdx:8, packBIdx:4 */
v_perm_b32 v[vgprValuB_X1_I0+6], v[vgprValuB_X1_I0_D1+1], v[vgprValuB_X1_I0_D0+1], s[sgprPackKForV1] // select K=01 for vector=1
v_perm_b32 v[vgprValuB_X1_I0+7], v[vgprValuB_X1_I0_D3+1], v[vgprValuB_X1_I0_D2+1], s[sgprPackKForV1] // select K=23 for vector=1
v_mfma_f32_16x16x16_f16 a[24+0:27+0], v[vgprValuB_X1_I0+2+0+0:vgprValuB_X1_I0+2+0+0+1], v[vgprValuA_X1_I0+4+0+0:vgprValuA_X1_I0+4+0+0+1], a[24:27]
/*  mfmaIndex:22  */
v_mfma_f32_16x16x16_f16 a[20+0:23+0], v[vgprValuB_X1_I0+2+0+0:vgprValuB_X1_I0+2+0+0+1], v[vgprValuA_X1_I0+2+0+0:vgprValuA_X1_I0+2+0+0+1], a[20:23]
/*  mfmaIndex:23  */
	;; [unrolled: 2-line block ×10, first 2 shown]
v_mfma_f32_16x16x16_f16 a[48+0:51+0], v[vgprValuB_X1_I0+6+0+0:vgprValuB_X1_I0+6+0+0+1], v[vgprValuA_X1_I0+0+0+0:vgprValuA_X1_I0+0+0+0+1], a[48:51]
/* numPrefetchIter=0 */
/* dataAtIterA=0 numReadsIterA=1 skipReadsIterA=0 readsPerIterA=4 */
/* dataAtIterB=0 numReadsIterB=1 skipReadsIterB=0 readsPerIterB=8 */

/* Stores for OptNLL */
Summation_End_OptNLL_18:
/* endSummation: add vgpr [0...70) to pool */
.set PackKForV0, UNDEF
.set PackKForV1, UNDEF

/* Mapping of Acc register -> C Vgpr register */
/* computeStoreVgprs */
v_lshrrev_b32 v4, 6, v[vgprSerial]                 // v4 = v[vgprSerial] / 64
v_and_b32 v1, 63, v[vgprSerial]                    // v1 = v[vgprSerial] % 64
v_lshrrev_b32 v1, 4, v1                            // v1 = v1 / 16
v_lshlrev_b32 v1, 0x2, v1                          // thread0 * continuous_output
v_lshrrev_b32 v5, 1, v4                            // v5 = v4 / 2
v_mul_lo_u32 v5, 0x10, v5                          // wave coordination offset 1
_v_add_lshl_u32 v1, v5, v1, 1                      // coordination 1 = vwb *(wave_id1 + tid1)
v_mul_lo_u32 v2, v1, s[sgprStrideC1J]              //  offset 1
v_mul_lo_u32 v3, v1, s[sgprStrideD1J]              //  offset 1
v_and_b32 v5, 1, v4                                // v5 = v4 % 2
v_mul_lo_u32 v5, 0x10, v5                          // wave coordination offset 0
v_and_b32 v0, 15, v[vgprSerial]                    // v0 = v[vgprSerial] % 16
_v_add_lshl_u32 v0, v5, v0, 2                      // coordination 0 = vwa *(wave_id0 + tid0)
s_mul_i32 s53, 128, s[sgprWorkGroup0]              // wgp0 * MT0
_v_add_u32 v0, s53, v0                             // coord 0 = (tid0/MI_m)*4 + waveG0*MIB_m + MT0*SG0
s_mul_i32 s53, 128, s[sgprWorkGroup1]              // wgp1 * MT1
_v_add_u32 v1, s53, v1                             // coord 1 = (tid0%MI_m) + waveG1*MIB_n + MT1*SG1
GW_B0_E0_21:

/* edge=0, allocate 2 sgpr. perBatchTmpS=2 perBatchMaskS=0 perElementMaskS=0 elementsPerBatch=16 */
/* optSingleColVgpr=1 optSharedColVgpr=0 optSGPRUsage=BufferLoad_Mask optSrdIncForRow=1 */
s_sleep 3 // optimization: sync and wait
s_barrier

/******************************************/
/* Global Write Batch #0 (d1,d0,vc1,vc0) = */
/*    (0,0,0,0:vw4); (0,0,1,0:vw4); (0,0,2,0:vw4); (0,0,3,0:vw4); (0,0,4,0:vw4); (0,0,5,0:vw4); (0,0,6,0:vw4); (0,0,7,0:vw4); (1,0,0,0:vw4); (1,0,1,0:vw4); (1,0,2,0:vw4); (1,0,3,0:vw4); (1,0,4,0:vw4); (1,0,5,0:vw4); (1,0,6,0:vw4); (1,0,7,0:vw4) */
/******************************************/

/* calc coords, apply mask, and issue loads (if necessary) */
/* (d1,vc1,d0,vc0)=(0,0,0,0) */
/* (d1,vc1,d0,vc0)=(0,1,0,0) */
	;; [unrolled: 1-line block ×16, first 2 shown]
_v_add_lshl_u32 v6, v3, v0, 0x1                    // optSingleColVgpr scaleToBpe: sharedAddrVgpr <- cinRowPtr + coord0, scaled by BPE. BSHERE:coord0=0, coord0Vgpr=0
v_accvgpr_read_b32 v[vgprValuC+8], acc0 // copy acc to vreg[0]
v_accvgpr_read_b32 v[vgprValuC+9], acc4 // copy acc to vreg[1]
v_accvgpr_read_b32 v[vgprValuC+10], acc8 // copy acc to vreg[2]
v_accvgpr_read_b32 v[vgprValuC+11], acc12 // copy acc to vreg[3]
v_accvgpr_read_b32 v[vgprValuC+12], acc16 // copy acc to vreg[4]
v_accvgpr_read_b32 v[vgprValuC+13], acc20 // copy acc to vreg[5]
v_accvgpr_read_b32 v[vgprValuC+14], acc24 // copy acc to vreg[6]
v_accvgpr_read_b32 v[vgprValuC+15], acc28 // copy acc to vreg[7]
v_accvgpr_read_b32 v[vgprValuC+16], acc1 // copy acc to vreg[8]
v_accvgpr_read_b32 v[vgprValuC+17], acc5 // copy acc to vreg[9]
v_accvgpr_read_b32 v[vgprValuC+18], acc9 // copy acc to vreg[10]
v_accvgpr_read_b32 v[vgprValuC+19], acc13 // copy acc to vreg[11]
v_accvgpr_read_b32 v[vgprValuC+20], acc17 // copy acc to vreg[12]
v_accvgpr_read_b32 v[vgprValuC+21], acc21 // copy acc to vreg[13]
v_accvgpr_read_b32 v[vgprValuC+22], acc25 // copy acc to vreg[14]
v_accvgpr_read_b32 v[vgprValuC+23], acc29 // copy acc to vreg[15]
v_accvgpr_read_b32 v[vgprValuC+24], acc2 // copy acc to vreg[16]
v_accvgpr_read_b32 v[vgprValuC+25], acc6 // copy acc to vreg[17]
v_accvgpr_read_b32 v[vgprValuC+26], acc10 // copy acc to vreg[18]
v_accvgpr_read_b32 v[vgprValuC+27], acc14 // copy acc to vreg[19]
v_accvgpr_read_b32 v[vgprValuC+28], acc18 // copy acc to vreg[20]
v_accvgpr_read_b32 v[vgprValuC+29], acc22 // copy acc to vreg[21]
v_accvgpr_read_b32 v[vgprValuC+30], acc26 // copy acc to vreg[22]
v_accvgpr_read_b32 v[vgprValuC+31], acc30 // copy acc to vreg[23]
v_accvgpr_read_b32 v[vgprValuC+32], acc3 // copy acc to vreg[24]
v_accvgpr_read_b32 v[vgprValuC+33], acc7 // copy acc to vreg[25]
v_accvgpr_read_b32 v[vgprValuC+34], acc11 // copy acc to vreg[26]
v_accvgpr_read_b32 v[vgprValuC+35], acc15 // copy acc to vreg[27]
v_accvgpr_read_b32 v[vgprValuC+36], acc19 // copy acc to vreg[28]
v_accvgpr_read_b32 v[vgprValuC+37], acc23 // copy acc to vreg[29]
v_accvgpr_read_b32 v[vgprValuC+38], acc27 // copy acc to vreg[30]
v_accvgpr_read_b32 v[vgprValuC+39], acc31 // copy acc to vreg[31]
v_accvgpr_read_b32 v[vgprValuC+40], acc32 // copy acc to vreg[32]
v_accvgpr_read_b32 v[vgprValuC+41], acc36 // copy acc to vreg[33]
v_accvgpr_read_b32 v[vgprValuC+42], acc40 // copy acc to vreg[34]
v_accvgpr_read_b32 v[vgprValuC+43], acc44 // copy acc to vreg[35]
v_accvgpr_read_b32 v[vgprValuC+44], acc48 // copy acc to vreg[36]
v_accvgpr_read_b32 v[vgprValuC+45], acc52 // copy acc to vreg[37]
v_accvgpr_read_b32 v[vgprValuC+46], acc56 // copy acc to vreg[38]
v_accvgpr_read_b32 v[vgprValuC+47], acc60 // copy acc to vreg[39]
v_accvgpr_read_b32 v[vgprValuC+48], acc33 // copy acc to vreg[40]
v_accvgpr_read_b32 v[vgprValuC+49], acc37 // copy acc to vreg[41]
v_accvgpr_read_b32 v[vgprValuC+50], acc41 // copy acc to vreg[42]
v_accvgpr_read_b32 v[vgprValuC+51], acc45 // copy acc to vreg[43]
v_accvgpr_read_b32 v[vgprValuC+52], acc49 // copy acc to vreg[44]
v_accvgpr_read_b32 v[vgprValuC+53], acc53 // copy acc to vreg[45]
v_accvgpr_read_b32 v[vgprValuC+54], acc57 // copy acc to vreg[46]
v_accvgpr_read_b32 v[vgprValuC+55], acc61 // copy acc to vreg[47]
v_accvgpr_read_b32 v[vgprValuC+56], acc34 // copy acc to vreg[48]
v_accvgpr_read_b32 v[vgprValuC+57], acc38 // copy acc to vreg[49]
v_accvgpr_read_b32 v[vgprValuC+58], acc42 // copy acc to vreg[50]
v_accvgpr_read_b32 v[vgprValuC+59], acc46 // copy acc to vreg[51]
v_accvgpr_read_b32 v[vgprValuC+60], acc50 // copy acc to vreg[52]
v_accvgpr_read_b32 v[vgprValuC+61], acc54 // copy acc to vreg[53]
v_accvgpr_read_b32 v[vgprValuC+62], acc58 // copy acc to vreg[54]
v_accvgpr_read_b32 v[vgprValuC+63], acc62 // copy acc to vreg[55]
v_accvgpr_read_b32 v[vgprValuC+64], acc35 // copy acc to vreg[56]
v_accvgpr_read_b32 v[vgprValuC+65], acc39 // copy acc to vreg[57]
v_accvgpr_read_b32 v[vgprValuC+66], acc43 // copy acc to vreg[58]
v_accvgpr_read_b32 v[vgprValuC+67], acc47 // copy acc to vreg[59]
v_accvgpr_read_b32 v[vgprValuC+76], acc51 // copy acc to vreg[60]
v_accvgpr_read_b32 v[vgprValuC+77], acc55 // copy acc to vreg[61]
v_accvgpr_read_b32 v[vgprValuC+78], acc59 // copy acc to vreg[62]
v_accvgpr_read_b32 v[vgprValuC+79], acc63 // copy acc to vreg[63]
s_nop 1                                            // 2 wait states required before reading vgpr

/* apply mask, calc new C and issue writes */
v_cvt_f16_f32 v[vgprValuC+8], v[vgprValuC+8]       // convert C to fp16
v_cvt_f16_f32 v[vgprValuC+9], v[vgprValuC+9]       // convert C to fp16
v_pack_b32_f16 v8, v[vgprValuC+8], v[vgprValuC+9]  // Pack with neighbor
v_cvt_f16_f32 v[vgprValuC+10], v[vgprValuC+10]     // convert C to fp16
v_cvt_f16_f32 v[vgprValuC+11], v[vgprValuC+11]     // convert C to fp16
v_pack_b32_f16 v9, v[vgprValuC+10], v[vgprValuC+11] // Pack with neighbor
_buffer_store_b64 v[8:9], v6, s[sgprSrdD:sgprSrdD+3], 0, offen, offset:0 // store D
v_cvt_f16_f32 v[vgprValuC+12], v[vgprValuC+12]     // convert C to fp16
v_cvt_f16_f32 v[vgprValuC+13], v[vgprValuC+13]     // convert C to fp16
v_pack_b32_f16 v12, v[vgprValuC+12], v[vgprValuC+13] // Pack with neighbor
v_cvt_f16_f32 v[vgprValuC+14], v[vgprValuC+14]     // convert C to fp16
v_cvt_f16_f32 v[vgprValuC+15], v[vgprValuC+15]     // convert C to fp16
v_pack_b32_f16 v13, v[vgprValuC+14], v[vgprValuC+15] // Pack with neighbor
s_lshl_b32  s54, s[sgprStrideD1J], 1               // incToNextRow: Scale by BPE
s_add_u32  s[sgprSrdD+0], s[sgprSrdD+0], s54       // incToNextRow: gra SRD += inc(lower)
s_addc_u32  s[sgprSrdD+1], s[sgprSrdD+1], 0        // incToNextRow: gra SRD += inc(upper)
_buffer_store_b64 v[12:13], v6, s[sgprSrdD:sgprSrdD+3], 0, offen, offset:0 // store D
v_cvt_f16_f32 v[vgprValuC+16], v[vgprValuC+16]     // convert C to fp16
v_cvt_f16_f32 v[vgprValuC+17], v[vgprValuC+17]     // convert C to fp16
v_pack_b32_f16 v16, v[vgprValuC+16], v[vgprValuC+17] // Pack with neighbor
v_cvt_f16_f32 v[vgprValuC+18], v[vgprValuC+18]     // convert C to fp16
v_cvt_f16_f32 v[vgprValuC+19], v[vgprValuC+19]     // convert C to fp16
v_pack_b32_f16 v17, v[vgprValuC+18], v[vgprValuC+19] // Pack with neighbor
s_lshl_b32  s54, s[sgprStrideD1J], 1               // incToNextRow: Scale by BPE
s_add_u32  s[sgprSrdD+0], s[sgprSrdD+0], s54       // incToNextRow: gra SRD += inc(lower)
s_addc_u32  s[sgprSrdD+1], s[sgprSrdD+1], 0        // incToNextRow: gra SRD += inc(upper)
	;; [unrolled: 10-line block ×7, first 2 shown]
_buffer_store_b64 v[36:37], v6, s[sgprSrdD:sgprSrdD+3], 0, offen, offset:0 // store D
v_cvt_f16_f32 v[vgprValuC+40], v[vgprValuC+40]     // convert C to fp16
v_cvt_f16_f32 v[vgprValuC+41], v[vgprValuC+41]     // convert C to fp16
v_pack_b32_f16 v40, v[vgprValuC+40], v[vgprValuC+41] // Pack with neighbor
v_cvt_f16_f32 v[vgprValuC+42], v[vgprValuC+42]     // convert C to fp16
v_cvt_f16_f32 v[vgprValuC+43], v[vgprValuC+43]     // convert C to fp16
v_pack_b32_f16 v41, v[vgprValuC+42], v[vgprValuC+43] // Pack with neighbor
s_mul_i32 s54, s[sgprStrideD1J], 114               // scale StrideD *= numRows(57) * bpe
s_add_u32  s[sgprSrdD+0], s[sgprSrdD+0], s54       // incToNextRow: gra SRD += inc(lower)
s_addc_u32  s[sgprSrdD+1], s[sgprSrdD+1], 0        // incToNextRow: gra SRD += inc(upper)
_buffer_store_b64 v[40:41], v6, s[sgprSrdD:sgprSrdD+3], 0, offen, offset:0 // store D
v_cvt_f16_f32 v[vgprValuC+44], v[vgprValuC+44]     // convert C to fp16
v_cvt_f16_f32 v[vgprValuC+45], v[vgprValuC+45]     // convert C to fp16
v_pack_b32_f16 v44, v[vgprValuC+44], v[vgprValuC+45] // Pack with neighbor
v_cvt_f16_f32 v[vgprValuC+46], v[vgprValuC+46]     // convert C to fp16
v_cvt_f16_f32 v[vgprValuC+47], v[vgprValuC+47]     // convert C to fp16
v_pack_b32_f16 v45, v[vgprValuC+46], v[vgprValuC+47] // Pack with neighbor
s_lshl_b32  s54, s[sgprStrideD1J], 1               // incToNextRow: Scale by BPE
s_add_u32  s[sgprSrdD+0], s[sgprSrdD+0], s54       // incToNextRow: gra SRD += inc(lower)
s_addc_u32  s[sgprSrdD+1], s[sgprSrdD+1], 0        // incToNextRow: gra SRD += inc(upper)
_buffer_store_b64 v[44:45], v6, s[sgprSrdD:sgprSrdD+3], 0, offen, offset:0 // store D
v_cvt_f16_f32 v[vgprValuC+48], v[vgprValuC+48]     // convert C to fp16
v_cvt_f16_f32 v[vgprValuC+49], v[vgprValuC+49]     // convert C to fp16
v_pack_b32_f16 v48, v[vgprValuC+48], v[vgprValuC+49] // Pack with neighbor
v_cvt_f16_f32 v[vgprValuC+50], v[vgprValuC+50]     // convert C to fp16
v_cvt_f16_f32 v[vgprValuC+51], v[vgprValuC+51]     // convert C to fp16
v_pack_b32_f16 v49, v[vgprValuC+50], v[vgprValuC+51] // Pack with neighbor
s_lshl_b32  s54, s[sgprStrideD1J], 1               // incToNextRow: Scale by BPE
	;; [unrolled: 10-line block ×7, first 2 shown]
s_add_u32  s[sgprSrdD+0], s[sgprSrdD+0], s54       // incToNextRow: gra SRD += inc(lower)
s_addc_u32  s[sgprSrdD+1], s[sgprSrdD+1], 0        // incToNextRow: gra SRD += inc(upper)
_buffer_store_b64 v[76:77], v6, s[sgprSrdD:sgprSrdD+3], 0, offen, offset:0 // store D
s_nop 0                                            // 1 wait state required when next inst writes vgprs held by previous dwordx4 store inst
s_branch label_GW_End_23                           // jump to end
label_GW_End_23:

s_endpgm                                           // Kernel End
OptNLL_End_17:


/******************************************/
/* Ord. NoLoadLoop - Begin                                      */
/******************************************/


	;; [unrolled: 1-line block ×4, first 2 shown]
/* iter 0 (last unrolled loop) */

/*  grEndMfmaIndex:0, lwStartMfmaIndex:13, lwEndMfmaIndex:13  */
/*  numMfmaForLR:15, barrierMfmaIndex:16, LocalWritePerMfma:4.000 */
/*  mfmaIndex:0  */
s_waitcnt lgkmcnt(0)                               // lgkmcnt=0 vmcnt=-1wait for prior local read local write old=0, new=0 newLW=0 newLR=0
/* pack scheduling: packAIdx:2, packBIdx:2 */
v_perm_b32 v[vgprValuA_X0_I0+0], v[vgprValuA_X0_I0_D1+0], v[vgprValuA_X0_I0_D0+0], s[sgprPackKForV0] // select K=01 for vector=0
v_perm_b32 v[vgprValuA_X0_I0+1], v[vgprValuA_X0_I0_D3+0], v[vgprValuA_X0_I0_D2+0], s[sgprPackKForV0] // select K=23 for vector=0
v_perm_b32 v[vgprValuB_X0_I0+0], v[vgprValuB_X0_I0_D1+0], v[vgprValuB_X0_I0_D0+0], s[sgprPackKForV0] // select K=01 for vector=0
v_perm_b32 v[vgprValuB_X0_I0+1], v[vgprValuB_X0_I0_D3+0], v[vgprValuB_X0_I0_D2+0], s[sgprPackKForV0] // select K=23 for vector=0
v_perm_b32 v[vgprValuA_X0_I0+2], v[vgprValuA_X0_I0_D1+0], v[vgprValuA_X0_I0_D0+0], s[sgprPackKForV1] // select K=01 for vector=1
v_perm_b32 v[vgprValuA_X0_I0+3], v[vgprValuA_X0_I0_D3+0], v[vgprValuA_X0_I0_D2+0], s[sgprPackKForV1] // select K=23 for vector=1
v_mfma_f32_16x16x16_f16 a[0+0:3+0], v[vgprValuB_X0_I0+0+0+0:vgprValuB_X0_I0+0+0+0+1], v[vgprValuA_X0_I0+0+0+0:vgprValuA_X0_I0+0+0+0+1], a[0:3]
/*  mfmaIndex:1  */
_ds_load_b64 v[vgprValuA_X1_I0_D0+0:vgprValuA_X1_I0_D0+0+1], v[vgprLocalReadAddrA] offset:4096 // L -> Reg lro=2048 swapByteOffset=0 ti=128 vIdx=0 rIdx=0 oIdx=0 buffer=1 iui=0
/* pack scheduling: packAIdx:4, packBIdx:2 */
v_perm_b32 v[vgprValuA_X0_I0+4], v[vgprValuA_X0_I0_D1+1], v[vgprValuA_X0_I0_D0+1], s[sgprPackKForV0] // select K=01 for vector=0
v_perm_b32 v[vgprValuA_X0_I0+5], v[vgprValuA_X0_I0_D3+1], v[vgprValuA_X0_I0_D2+1], s[sgprPackKForV0] // select K=23 for vector=0
v_mfma_f32_16x16x16_f16 a[4+0:7+0], v[vgprValuB_X0_I0+0+0+0:vgprValuB_X0_I0+0+0+0+1], v[vgprValuA_X0_I0+2+0+0:vgprValuA_X0_I0+2+0+0+1], a[4:7]
/*  mfmaIndex:2  */
_ds_load_b64 v[vgprValuA_X1_I0_D1+0:vgprValuA_X1_I0_D1+0+1], v[vgprLocalReadAddrA] offset:4352 // L -> Reg lro=2048 swapByteOffset=0 ti=128 vIdx=0 rIdx=1 oIdx=0 buffer=1 iui=0
/* pack scheduling: packAIdx:6, packBIdx:2 */
v_perm_b32 v[vgprValuA_X0_I0+6], v[vgprValuA_X0_I0_D1+1], v[vgprValuA_X0_I0_D0+1], s[sgprPackKForV1] // select K=01 for vector=1
v_perm_b32 v[vgprValuA_X0_I0+7], v[vgprValuA_X0_I0_D3+1], v[vgprValuA_X0_I0_D2+1], s[sgprPackKForV1] // select K=23 for vector=1
v_mfma_f32_16x16x16_f16 a[8+0:11+0], v[vgprValuB_X0_I0+0+0+0:vgprValuB_X0_I0+0+0+0+1], v[vgprValuA_X0_I0+4+0+0:vgprValuA_X0_I0+4+0+0+1], a[8:11]
/*  mfmaIndex:3  */
_ds_load_b64 v[vgprValuA_X1_I0_D2+0:vgprValuA_X1_I0_D2+0+1], v[vgprLocalReadAddrA] offset:4608 // L -> Reg lro=2048 swapByteOffset=0 ti=128 vIdx=0 rIdx=2 oIdx=0 buffer=1 iui=0
/* pack scheduling: packAIdx:8, packBIdx:2 */
v_perm_b32 v[vgprValuB_X0_I0+2], v[vgprValuB_X0_I0_D1+0], v[vgprValuB_X0_I0_D0+0], s[sgprPackKForV1] // select K=01 for vector=1
v_perm_b32 v[vgprValuB_X0_I0+3], v[vgprValuB_X0_I0_D3+0], v[vgprValuB_X0_I0_D2+0], s[sgprPackKForV1] // select K=23 for vector=1
v_mfma_f32_16x16x16_f16 a[12+0:15+0], v[vgprValuB_X0_I0+0+0+0:vgprValuB_X0_I0+0+0+0+1], v[vgprValuA_X0_I0+6+0+0:vgprValuA_X0_I0+6+0+0+1], a[12:15]
/*  mfmaIndex:4  */
_ds_load_b64 v[vgprValuA_X1_I0_D3+0:vgprValuA_X1_I0_D3+0+1], v[vgprLocalReadAddrA] offset:4864 // L -> Reg lro=2048 swapByteOffset=0 ti=128 vIdx=0 rIdx=3 oIdx=0 buffer=1 iui=0
/* pack scheduling: packAIdx:8, packBIdx:4 */
v_perm_b32 v[vgprValuB_X0_I0+4], v[vgprValuB_X0_I0_D1+1], v[vgprValuB_X0_I0_D0+1], s[sgprPackKForV0] // select K=01 for vector=0
v_perm_b32 v[vgprValuB_X0_I0+5], v[vgprValuB_X0_I0_D3+1], v[vgprValuB_X0_I0_D2+1], s[sgprPackKForV0] // select K=23 for vector=0
v_mfma_f32_16x16x16_f16 a[28+0:31+0], v[vgprValuB_X0_I0+2+0+0:vgprValuB_X0_I0+2+0+0+1], v[vgprValuA_X0_I0+6+0+0:vgprValuA_X0_I0+6+0+0+1], a[28:31]
/*  mfmaIndex:5  */
_ds_load_b32 v[vgprValuB_X1_I0_D0+0], v[vgprLocalReadAddrB] offset:4352 // L -> Reg lro=2048 swapByteOffset=0 ti=64 vIdx=0 rIdx=0 oIdx=0 buffer=1 iui=0
/* pack scheduling: packAIdx:8, packBIdx:4 */
v_perm_b32 v[vgprValuB_X0_I0+6], v[vgprValuB_X0_I0_D1+1], v[vgprValuB_X0_I0_D0+1], s[sgprPackKForV1] // select K=01 for vector=1
v_perm_b32 v[vgprValuB_X0_I0+7], v[vgprValuB_X0_I0_D3+1], v[vgprValuB_X0_I0_D2+1], s[sgprPackKForV1] // select K=23 for vector=1
v_mfma_f32_16x16x16_f16 a[24+0:27+0], v[vgprValuB_X0_I0+2+0+0:vgprValuB_X0_I0+2+0+0+1], v[vgprValuA_X0_I0+4+0+0:vgprValuA_X0_I0+4+0+0+1], a[24:27]
/*  mfmaIndex:6  */
_ds_load_b32 v[vgprValuB_X1_I0_D1+0], v[vgprLocalReadAddrB] offset:4608 // L -> Reg lro=2048 swapByteOffset=0 ti=64 vIdx=0 rIdx=1 oIdx=0 buffer=1 iui=0
v_mfma_f32_16x16x16_f16 a[20+0:23+0], v[vgprValuB_X0_I0+2+0+0:vgprValuB_X0_I0+2+0+0+1], v[vgprValuA_X0_I0+2+0+0:vgprValuA_X0_I0+2+0+0+1], a[20:23]
/*  mfmaIndex:7  */
_ds_load_b32 v[vgprValuB_X1_I0_D2+0], v[vgprLocalReadAddrB] offset:4864 // L -> Reg lro=2048 swapByteOffset=0 ti=64 vIdx=0 rIdx=2 oIdx=0 buffer=1 iui=0
v_mfma_f32_16x16x16_f16 a[16+0:19+0], v[vgprValuB_X0_I0+2+0+0:vgprValuB_X0_I0+2+0+0+1], v[vgprValuA_X0_I0+0+0+0:vgprValuA_X0_I0+0+0+0+1], a[16:19]
/*  mfmaIndex:8  */
_ds_load_b32 v[vgprValuB_X1_I0_D3+0], v[vgprLocalReadAddrB] offset:5120 // L -> Reg lro=2048 swapByteOffset=0 ti=64 vIdx=0 rIdx=3 oIdx=0 buffer=1 iui=0
v_mfma_f32_16x16x16_f16 a[32+0:35+0], v[vgprValuB_X0_I0+4+0+0:vgprValuB_X0_I0+4+0+0+1], v[vgprValuA_X0_I0+0+0+0:vgprValuA_X0_I0+0+0+0+1], a[32:35]
/*  mfmaIndex:9  */
_ds_load_b32 v[vgprValuB_X1_I0_D0+1], v[vgprLocalReadAddrB] offset:4480 // L -> Reg lro=2048 swapByteOffset=0 ti=64 vIdx=1 rIdx=0 oIdx=0 buffer=1 iui=0
v_mfma_f32_16x16x16_f16 a[36+0:39+0], v[vgprValuB_X0_I0+4+0+0:vgprValuB_X0_I0+4+0+0+1], v[vgprValuA_X0_I0+2+0+0:vgprValuA_X0_I0+2+0+0+1], a[36:39]
/*  mfmaIndex:10  */
_ds_load_b32 v[vgprValuB_X1_I0_D1+1], v[vgprLocalReadAddrB] offset:4736 // L -> Reg lro=2048 swapByteOffset=0 ti=64 vIdx=1 rIdx=1 oIdx=0 buffer=1 iui=0
v_mfma_f32_16x16x16_f16 a[40+0:43+0], v[vgprValuB_X0_I0+4+0+0:vgprValuB_X0_I0+4+0+0+1], v[vgprValuA_X0_I0+4+0+0:vgprValuA_X0_I0+4+0+0+1], a[40:43]
/*  mfmaIndex:11  */
_ds_load_b32 v[vgprValuB_X1_I0_D2+1], v[vgprLocalReadAddrB] offset:4992 // L -> Reg lro=2048 swapByteOffset=0 ti=64 vIdx=1 rIdx=2 oIdx=0 buffer=1 iui=0
v_mfma_f32_16x16x16_f16 a[44+0:47+0], v[vgprValuB_X0_I0+4+0+0:vgprValuB_X0_I0+4+0+0+1], v[vgprValuA_X0_I0+6+0+0:vgprValuA_X0_I0+6+0+0+1], a[44:47]
/*  mfmaIndex:12  */
_ds_load_b32 v[vgprValuB_X1_I0_D3+1], v[vgprLocalReadAddrB] offset:5248 // L -> Reg lro=2048 swapByteOffset=0 ti=64 vIdx=1 rIdx=3 oIdx=0 buffer=1 iui=0
v_mfma_f32_16x16x16_f16 a[60+0:63+0], v[vgprValuB_X0_I0+6+0+0:vgprValuB_X0_I0+6+0+0+1], v[vgprValuA_X0_I0+6+0+0:vgprValuA_X0_I0+6+0+0+1], a[60:63]
/*  mfmaIndex:13  */
/* localReadsVacancy: latencyLeft 2 */
v_mfma_f32_16x16x16_f16 a[56+0:59+0], v[vgprValuB_X0_I0+6+0+0:vgprValuB_X0_I0+6+0+0+1], v[vgprValuA_X0_I0+4+0+0:vgprValuA_X0_I0+4+0+0+1], a[56:59]
/*  mfmaIndex:14  */
/* localReadsVacancy: latencyLeft 2 */
	;; [unrolled: 3-line block ×3, first 2 shown]
v_mfma_f32_16x16x16_f16 a[48+0:51+0], v[vgprValuB_X0_I0+6+0+0:vgprValuB_X0_I0+6+0+0+1], v[vgprValuA_X0_I0+0+0+0:vgprValuA_X0_I0+0+0+0+1], a[48:51]
/* numPrefetchIter=0 */
/* dataAtIterA=-1 numReadsIterA=1 skipReadsIterA=1 readsPerIterA=4 */
/* dataAtIterB=-1 numReadsIterB=1 skipReadsIterB=1 readsPerIterB=8 */


/* iter 1 (last unrolled loop) */

/*  grEndMfmaIndex:0, lwStartMfmaIndex:13, lwEndMfmaIndex:13  */
/*  numMfmaForLR:15, barrierMfmaIndex:16, LocalWritePerMfma:4.000 */
/*  mfmaIndex:16  */
s_waitcnt lgkmcnt(0)                               // lgkmcnt=0 vmcnt=-1wait for prior local read local write old=0, new=0 newLW=0 newLR=0
/* pack scheduling: packAIdx:2, packBIdx:2 */
v_perm_b32 v[vgprValuA_X1_I0+0], v[vgprValuA_X1_I0_D1+0], v[vgprValuA_X1_I0_D0+0], s[sgprPackKForV0] // select K=01 for vector=0
v_perm_b32 v[vgprValuA_X1_I0+1], v[vgprValuA_X1_I0_D3+0], v[vgprValuA_X1_I0_D2+0], s[sgprPackKForV0] // select K=23 for vector=0
v_perm_b32 v[vgprValuB_X1_I0+0], v[vgprValuB_X1_I0_D1+0], v[vgprValuB_X1_I0_D0+0], s[sgprPackKForV0] // select K=01 for vector=0
v_perm_b32 v[vgprValuB_X1_I0+1], v[vgprValuB_X1_I0_D3+0], v[vgprValuB_X1_I0_D2+0], s[sgprPackKForV0] // select K=23 for vector=0
v_perm_b32 v[vgprValuA_X1_I0+2], v[vgprValuA_X1_I0_D1+0], v[vgprValuA_X1_I0_D0+0], s[sgprPackKForV1] // select K=01 for vector=1
v_perm_b32 v[vgprValuA_X1_I0+3], v[vgprValuA_X1_I0_D3+0], v[vgprValuA_X1_I0_D2+0], s[sgprPackKForV1] // select K=23 for vector=1
v_mfma_f32_16x16x16_f16 a[0+0:3+0], v[vgprValuB_X1_I0+0+0+0:vgprValuB_X1_I0+0+0+0+1], v[vgprValuA_X1_I0+0+0+0:vgprValuA_X1_I0+0+0+0+1], a[0:3]
/*  mfmaIndex:17  */
/* pack scheduling: packAIdx:4, packBIdx:2 */
v_perm_b32 v[vgprValuA_X1_I0+4], v[vgprValuA_X1_I0_D1+1], v[vgprValuA_X1_I0_D0+1], s[sgprPackKForV0] // select K=01 for vector=0
v_perm_b32 v[vgprValuA_X1_I0+5], v[vgprValuA_X1_I0_D3+1], v[vgprValuA_X1_I0_D2+1], s[sgprPackKForV0] // select K=23 for vector=0
v_mfma_f32_16x16x16_f16 a[4+0:7+0], v[vgprValuB_X1_I0+0+0+0:vgprValuB_X1_I0+0+0+0+1], v[vgprValuA_X1_I0+2+0+0:vgprValuA_X1_I0+2+0+0+1], a[4:7]
/*  mfmaIndex:18  */
/* pack scheduling: packAIdx:6, packBIdx:2 */
v_perm_b32 v[vgprValuA_X1_I0+6], v[vgprValuA_X1_I0_D1+1], v[vgprValuA_X1_I0_D0+1], s[sgprPackKForV1] // select K=01 for vector=1
v_perm_b32 v[vgprValuA_X1_I0+7], v[vgprValuA_X1_I0_D3+1], v[vgprValuA_X1_I0_D2+1], s[sgprPackKForV1] // select K=23 for vector=1
v_mfma_f32_16x16x16_f16 a[8+0:11+0], v[vgprValuB_X1_I0+0+0+0:vgprValuB_X1_I0+0+0+0+1], v[vgprValuA_X1_I0+4+0+0:vgprValuA_X1_I0+4+0+0+1], a[8:11]
/*  mfmaIndex:19  */
/* pack scheduling: packAIdx:8, packBIdx:2 */
v_perm_b32 v[vgprValuB_X1_I0+2], v[vgprValuB_X1_I0_D1+0], v[vgprValuB_X1_I0_D0+0], s[sgprPackKForV1] // select K=01 for vector=1
v_perm_b32 v[vgprValuB_X1_I0+3], v[vgprValuB_X1_I0_D3+0], v[vgprValuB_X1_I0_D2+0], s[sgprPackKForV1] // select K=23 for vector=1
v_mfma_f32_16x16x16_f16 a[12+0:15+0], v[vgprValuB_X1_I0+0+0+0:vgprValuB_X1_I0+0+0+0+1], v[vgprValuA_X1_I0+6+0+0:vgprValuA_X1_I0+6+0+0+1], a[12:15]
/*  mfmaIndex:20  */
/* pack scheduling: packAIdx:8, packBIdx:4 */
v_perm_b32 v[vgprValuB_X1_I0+4], v[vgprValuB_X1_I0_D1+1], v[vgprValuB_X1_I0_D0+1], s[sgprPackKForV0] // select K=01 for vector=0
v_perm_b32 v[vgprValuB_X1_I0+5], v[vgprValuB_X1_I0_D3+1], v[vgprValuB_X1_I0_D2+1], s[sgprPackKForV0] // select K=23 for vector=0
v_mfma_f32_16x16x16_f16 a[28+0:31+0], v[vgprValuB_X1_I0+2+0+0:vgprValuB_X1_I0+2+0+0+1], v[vgprValuA_X1_I0+6+0+0:vgprValuA_X1_I0+6+0+0+1], a[28:31]
/*  mfmaIndex:21  */
/* pack scheduling: packAIdx:8, packBIdx:4 */
v_perm_b32 v[vgprValuB_X1_I0+6], v[vgprValuB_X1_I0_D1+1], v[vgprValuB_X1_I0_D0+1], s[sgprPackKForV1] // select K=01 for vector=1
v_perm_b32 v[vgprValuB_X1_I0+7], v[vgprValuB_X1_I0_D3+1], v[vgprValuB_X1_I0_D2+1], s[sgprPackKForV1] // select K=23 for vector=1
v_mfma_f32_16x16x16_f16 a[24+0:27+0], v[vgprValuB_X1_I0+2+0+0:vgprValuB_X1_I0+2+0+0+1], v[vgprValuA_X1_I0+4+0+0:vgprValuA_X1_I0+4+0+0+1], a[24:27]
/*  mfmaIndex:22  */
v_mfma_f32_16x16x16_f16 a[20+0:23+0], v[vgprValuB_X1_I0+2+0+0:vgprValuB_X1_I0+2+0+0+1], v[vgprValuA_X1_I0+2+0+0:vgprValuA_X1_I0+2+0+0+1], a[20:23]
/*  mfmaIndex:23  */
	;; [unrolled: 2-line block ×10, first 2 shown]
v_mfma_f32_16x16x16_f16 a[48+0:51+0], v[vgprValuB_X1_I0+6+0+0:vgprValuB_X1_I0+6+0+0+1], v[vgprValuA_X1_I0+0+0+0:vgprValuA_X1_I0+0+0+0+1], a[48:51]
/* numPrefetchIter=0 */
/* dataAtIterA=0 numReadsIterA=1 skipReadsIterA=0 readsPerIterA=4 */
/* dataAtIterB=0 numReadsIterB=1 skipReadsIterB=0 readsPerIterB=8 */

PrefetchGlobalLastIterEnd_5:


/******************************************/
/* Tail Loop                              */
/******************************************/


/* local write reset offsets a */


v_and_b32 v[vgprLocalWriteAddrA], 0xf07fff, v[vgprLocalWriteAddrA] // reset to Red


/* local write reset offsets b */


v_and_b32 v[vgprLocalWriteAddrB], 0xf07fff, v[vgprLocalWriteAddrB] // reset to Red


//numIterL = (((sizeL % LOCAL_DEPTHU) + LOCAL_SPLITU - 1) / LOCAL_SPLITU)
s_and_b32 s[sgprLoopCounterL], 31, s[sgprSizesSum+0] // s[sgprLoopCounterL] = s[sgprSizesSum+0] % 32
s_cmp_eq_u32 s[sgprLoopCounterL], 0x0              // numIterL == 0
s_cbranch_scc1 SkipTailLoopL_8                     // skip to end of tail loop b/c numIter==0
s_mov_b32 s[sgprOrigLoopCounter], 0                // repurpose to count each localRead increment


/* remove stagger offsets for tail loop */

s_mov_b32 s60, 3                                   // 
s_mul_hi_u32 s59, s60, s[sgprGlobalReadIncsA+0]    // 3 * GlobalReadIncs
s_mul_i32 s58, s60, s[sgprGlobalReadIncsA+0]       // 3 * GlobalReadIncs
s_mul_hi_u32 s61, s[sgprStaggerUIter], s[sgprGlobalReadIncsA+0] // StaggerUIter * GlobalReadIncs
s_mul_i32 s60, s[sgprStaggerUIter], s[sgprGlobalReadIncsA+0] // StaggerUIter * GlobalReadIncs
s_sub_u32 s58, s58, s60                            // start offset S in bytes
s_subb_u32 s59, s59, s61                           // start offset S in bytes
s_sub_u32 s58, s58, s[sgprWrapUA]                  // S - WrapU
s_subb_u32 s59, s59, s[sgprWrapUA+1]               // S - WrapU
s_add_u32 s[sgprSrdA+0], s[sgprSrdA+0], s58        // gra SRD += inc(lower)
s_addc_u32  s[sgprSrdA+1], s[sgprSrdA+1], s59      // gra SRD += inc(upper)
s_sub_u32 s[sgprShadowLimitA+0], s[sgprShadowLimitA+0], s58 // limit -= inc)
s_subb_u32 s[sgprShadowLimitA+1], s[sgprShadowLimitA+1], s59 // limit -= inc)
s_cmp_eq_u32 s[sgprShadowLimitA+1], 0              // are we within 2^32?
s_cselect_b32 s[sgprSrdA+2], s[sgprShadowLimitA+0], BufferLimitA // Move shadow to real if we are within 2^32

s_mov_b32 s60, 3                                   // 
s_mul_hi_u32 s59, s60, s[sgprGlobalReadIncsB+0]    // 3 * GlobalReadIncs
s_mul_i32 s58, s60, s[sgprGlobalReadIncsB+0]       // 3 * GlobalReadIncs
s_mul_hi_u32 s61, s[sgprStaggerUIter], s[sgprGlobalReadIncsB+0] // StaggerUIter * GlobalReadIncs
s_mul_i32 s60, s[sgprStaggerUIter], s[sgprGlobalReadIncsB+0] // StaggerUIter * GlobalReadIncs
s_sub_u32 s58, s58, s60                            // start offset S in bytes
s_subb_u32 s59, s59, s61                           // start offset S in bytes
s_sub_u32 s58, s58, s[sgprWrapUB]                  // S - WrapU
s_subb_u32 s59, s59, s[sgprWrapUB+1]               // S - WrapU
s_add_u32 s[sgprSrdB+0], s[sgprSrdB+0], s58        // gra SRD += inc(lower)
s_addc_u32  s[sgprSrdB+1], s[sgprSrdB+1], s59      // gra SRD += inc(upper)
s_sub_u32 s[sgprShadowLimitB+0], s[sgprShadowLimitB+0], s58 // limit -= inc)
s_subb_u32 s[sgprShadowLimitB+1], s[sgprShadowLimitB+1], s59 // limit -= inc)
s_cmp_eq_u32 s[sgprShadowLimitB+1], 0              // are we within 2^32?
s_cselect_b32 s[sgprSrdB+2], s[sgprShadowLimitB+0], BufferLimitB // Move shadow to real if we are within 2^32


/* Update M0 for DTLDS */


	;; [unrolled: 1-line block ×3, first 2 shown]
/* global read a */

/* g2l=0, load component 0 */
_buffer_load_d16_b16 v[vgprG2LA+0+0], v[vgprGlobalReadOffsetA+0], s[sgprSrdA:sgprSrdA+3], 0, offen offset:0 // load one buffer value
/* g2l=0, load component 1 */
_buffer_load_d16_hi_b16 v73, v[vgprGlobalReadOffsetA+0], s[sgprSrdA:sgprSrdA+3], 0, offen offset:2 // load one buffer value
s_waitcnt vmcnt(0)
v_or_b32 v[vgprG2LA+0+0], v[vgprG2LA+0+0], v73 // HasEccHalf: pack
/* g2l=0, load component 2 */
_buffer_load_d16_b16 v[vgprG2LA+0+1], v[vgprGlobalReadOffsetA+0], s[sgprSrdA:sgprSrdA+3], 0, offen offset:4 // load one buffer value
/* g2l=0, load component 3 */
_buffer_load_d16_hi_b16 v73, v[vgprGlobalReadOffsetA+0], s[sgprSrdA:sgprSrdA+3], 0, offen offset:6 // load one buffer value
s_waitcnt vmcnt(0)
v_or_b32 v[vgprG2LA+0+1], v[vgprG2LA+0+1], v73 // HasEccHalf: pack
	;; [unrolled: 6-line block ×8, first 2 shown]


/* Update M0 for DTLDS */


	;; [unrolled: 1-line block ×3, first 2 shown]
/* global read b */

/* g2l=0, load component 0 */
_buffer_load_d16_b16 v[vgprG2LB+0+0], v[vgprGlobalReadOffsetB+0], s[sgprSrdB:sgprSrdB+3], 0, offen offset:0 // load one buffer value
/* g2l=0, load component 1 */
_buffer_load_d16_hi_b16 v73, v[vgprGlobalReadOffsetB+0], s[sgprSrdB:sgprSrdB+3], 0, offen offset:2 // load one buffer value
s_waitcnt vmcnt(0)
v_or_b32 v[vgprG2LB+0+0], v[vgprG2LB+0+0], v73 // HasEccHalf: pack
/* g2l=0, load component 2 */
_buffer_load_d16_b16 v[vgprG2LB+0+1], v[vgprGlobalReadOffsetB+0], s[sgprSrdB:sgprSrdB+3], 0, offen offset:4 // load one buffer value
/* g2l=0, load component 3 */
_buffer_load_d16_hi_b16 v73, v[vgprGlobalReadOffsetB+0], s[sgprSrdB:sgprSrdB+3], 0, offen offset:6 // load one buffer value
s_waitcnt vmcnt(0)
v_or_b32 v[vgprG2LB+0+1], v[vgprG2LB+0+1], v73 // HasEccHalf: pack
	;; [unrolled: 6-line block ×8, first 2 shown]

s_waitcnt vmcnt(0)                                 // lgkmcnt=-1 vmcnt=02wait for global read

// Skip force waitcnt0
s_barrier //


/* Done global A/B reads */


	;; [unrolled: 1-line block ×4, first 2 shown]
/* local write a */

_ds_store_b128 v[vgprLocalWriteAddrA], v[vgprG2LA+0:vgprG2LA+0+3] offset:0 // lwoA_0_0_0_0 = (0*LSCA) + (0*LSPA)(*MT0I+PAD) = 0
_ds_store_b128 v[vgprLocalWriteAddrA], v[vgprG2LA+4:vgprG2LA+4+3] offset:1024 // lwoA_0_0_1_0 = (0*LSCA) + (1*LSPA)(*MT0I+PAD) = 1024


/* local write b */

_ds_store_b128 v[vgprLocalWriteAddrB], v[vgprG2LB+0:vgprG2LB+0+3] offset:0 // lwoB_0_0_0_0 = (0*LSCB) + (0*LSPB)(*MT1J+PAD) = 0
_ds_store_b128 v[vgprLocalWriteAddrB], v[vgprG2LB+4:vgprG2LB+4+3] offset:4352 // lwoB_0_0_1_0 = (0*LSCB) + (1*LSPB)(*MT1J+PAD) = 4352


/* Recalc local read offsets */


s_waitcnt lgkmcnt(0)                               // lgkmcnt=0 vmcnt=-15wait for local write

// Skip force waitcnt0
s_barrier //


/* local read reset offsets a */


/* localReadResetOffsets */
/* handled internally */
v_and_b32 v[vgprLocalReadAddrA], 0x7fff, v[vgprLocalReadAddrA] // reset Red,Blk -> Red


/* local read reset offsets b */


/* localReadResetOffsets */
/* handled internally */
v_and_b32 v[vgprLocalReadAddrB], 0x7fff, v[vgprLocalReadAddrB] // reset Red,Blk -> Red


/* local read init pointers a */


/* localReadInitPointers */


/* local read init pointers b */


/* localReadInitPointers */


/* tail loop: macs */

TailLoopBeginL_6:


/* tail loop unroll iter 0 */


/* local read a */

_ds_load_b64 v[vgprValuA_X0_I0_D0+0:vgprValuA_X0_I0_D0+0+1], v[vgprLocalReadAddrA] offset:0 // L -> Reg lro=0 swapByteOffset=0 ti=128 vIdx=0 rIdx=0 oIdx=0 buffer=0 iui=0
_ds_load_b64 v[vgprValuA_X0_I0_D1+0:vgprValuA_X0_I0_D1+0+1], v[vgprLocalReadAddrA] offset:256 // L -> Reg lro=0 swapByteOffset=0 ti=128 vIdx=0 rIdx=1 oIdx=0 buffer=0 iui=0
_ds_load_b64 v[vgprValuA_X0_I0_D2+0:vgprValuA_X0_I0_D2+0+1], v[vgprLocalReadAddrA] offset:512 // L -> Reg lro=0 swapByteOffset=0 ti=128 vIdx=0 rIdx=2 oIdx=0 buffer=0 iui=0
_ds_load_b64 v[vgprValuA_X0_I0_D3+0:vgprValuA_X0_I0_D3+0+1], v[vgprLocalReadAddrA] offset:768 // L -> Reg lro=0 swapByteOffset=0 ti=128 vIdx=0 rIdx=3 oIdx=0 buffer=0 iui=0


/* local read b */

_ds_load_b32 v[vgprValuB_X0_I0_D0+0], v[vgprLocalReadAddrB] offset:0 // L -> Reg lro=0 swapByteOffset=0 ti=64 vIdx=0 rIdx=0 oIdx=0 buffer=0 iui=0
_ds_load_b32 v[vgprValuB_X0_I0_D1+0], v[vgprLocalReadAddrB] offset:256 // L -> Reg lro=0 swapByteOffset=0 ti=64 vIdx=0 rIdx=1 oIdx=0 buffer=0 iui=0
_ds_load_b32 v[vgprValuB_X0_I0_D2+0], v[vgprLocalReadAddrB] offset:512 // L -> Reg lro=0 swapByteOffset=0 ti=64 vIdx=0 rIdx=2 oIdx=0 buffer=0 iui=0
_ds_load_b32 v[vgprValuB_X0_I0_D3+0], v[vgprLocalReadAddrB] offset:768 // L -> Reg lro=0 swapByteOffset=0 ti=64 vIdx=0 rIdx=3 oIdx=0 buffer=0 iui=0
_ds_load_b32 v[vgprValuB_X0_I0_D0+1], v[vgprLocalReadAddrB] offset:128 // L -> Reg lro=0 swapByteOffset=0 ti=64 vIdx=1 rIdx=0 oIdx=0 buffer=0 iui=0
_ds_load_b32 v[vgprValuB_X0_I0_D1+1], v[vgprLocalReadAddrB] offset:384 // L -> Reg lro=0 swapByteOffset=0 ti=64 vIdx=1 rIdx=1 oIdx=0 buffer=0 iui=0
_ds_load_b32 v[vgprValuB_X0_I0_D2+1], v[vgprLocalReadAddrB] offset:640 // L -> Reg lro=0 swapByteOffset=0 ti=64 vIdx=1 rIdx=2 oIdx=0 buffer=0 iui=0
_ds_load_b32 v[vgprValuB_X0_I0_D3+1], v[vgprLocalReadAddrB] offset:896 // L -> Reg lro=0 swapByteOffset=0 ti=64 vIdx=1 rIdx=3 oIdx=0 buffer=0 iui=0


/* local read inc a */

s_mov_b32 s54, 0x1000                              // inc
_v_add_co_u32 v[vgprLocalReadAddrA], vcc, s54, v[vgprLocalReadAddrA] // lrA += 4096 (LSU*(MT+PAD)*bpe)


/* local read inc b */

s_mov_b32 s54, 0x1100                              // inc
_v_add_co_u32 v[vgprLocalReadAddrB], vcc, s54, v[vgprLocalReadAddrB] // lrB += 4352 (LSU*(MT+PAD)*bpe)

s_waitcnt lgkmcnt(0)                               // lgkmcnt=0 vmcnt=-14wait for local read

v_perm_b32 v[vgprValuA_X0_I0+0], v[vgprValuA_X0_I0_D1+0], v[vgprValuA_X0_I0_D0+0], s[sgprPackKForV0] // select K=01 for vector=0
v_perm_b32 v[vgprValuA_X0_I0+1], v[vgprValuA_X0_I0_D3+0], v[vgprValuA_X0_I0_D2+0], s[sgprPackKForV0] // select K=23 for vector=0
v_perm_b32 v[vgprValuA_X0_I0+2], v[vgprValuA_X0_I0_D1+0], v[vgprValuA_X0_I0_D0+0], s[sgprPackKForV1] // select K=01 for vector=1
v_perm_b32 v[vgprValuA_X0_I0+3], v[vgprValuA_X0_I0_D3+0], v[vgprValuA_X0_I0_D2+0], s[sgprPackKForV1] // select K=23 for vector=1
v_perm_b32 v[vgprValuA_X0_I0+4], v[vgprValuA_X0_I0_D1+1], v[vgprValuA_X0_I0_D0+1], s[sgprPackKForV0] // select K=01 for vector=0
v_perm_b32 v[vgprValuA_X0_I0+5], v[vgprValuA_X0_I0_D3+1], v[vgprValuA_X0_I0_D2+1], s[sgprPackKForV0] // select K=23 for vector=0
v_perm_b32 v[vgprValuA_X0_I0+6], v[vgprValuA_X0_I0_D1+1], v[vgprValuA_X0_I0_D0+1], s[sgprPackKForV1] // select K=01 for vector=1
v_perm_b32 v[vgprValuA_X0_I0+7], v[vgprValuA_X0_I0_D3+1], v[vgprValuA_X0_I0_D2+1], s[sgprPackKForV1] // select K=23 for vector=1
v_perm_b32 v[vgprValuB_X0_I0+0], v[vgprValuB_X0_I0_D1+0], v[vgprValuB_X0_I0_D0+0], s[sgprPackKForV0] // select K=01 for vector=0
v_perm_b32 v[vgprValuB_X0_I0+1], v[vgprValuB_X0_I0_D3+0], v[vgprValuB_X0_I0_D2+0], s[sgprPackKForV0] // select K=23 for vector=0
v_perm_b32 v[vgprValuB_X0_I0+2], v[vgprValuB_X0_I0_D1+0], v[vgprValuB_X0_I0_D0+0], s[sgprPackKForV1] // select K=01 for vector=1
v_perm_b32 v[vgprValuB_X0_I0+3], v[vgprValuB_X0_I0_D3+0], v[vgprValuB_X0_I0_D2+0], s[sgprPackKForV1] // select K=23 for vector=1
v_perm_b32 v[vgprValuB_X0_I0+4], v[vgprValuB_X0_I0_D1+1], v[vgprValuB_X0_I0_D0+1], s[sgprPackKForV0] // select K=01 for vector=0
v_perm_b32 v[vgprValuB_X0_I0+5], v[vgprValuB_X0_I0_D3+1], v[vgprValuB_X0_I0_D2+1], s[sgprPackKForV0] // select K=23 for vector=0
v_perm_b32 v[vgprValuB_X0_I0+6], v[vgprValuB_X0_I0_D1+1], v[vgprValuB_X0_I0_D0+1], s[sgprPackKForV1] // select K=01 for vector=1
v_perm_b32 v[vgprValuB_X0_I0+7], v[vgprValuB_X0_I0_D3+1], v[vgprValuB_X0_I0_D2+1], s[sgprPackKForV1] // select K=23 for vector=1

s_nop 1
v_mfma_f32_16x16x16_f16 a[0+0:3+0], v[vgprValuB_X0_I0+0+0+0:vgprValuB_X0_I0+0+0+0+1], v[vgprValuA_X0_I0+0+0+0:vgprValuA_X0_I0+0+0+0+1], a[0:3]
v_mfma_f32_16x16x16_f16 a[4+0:7+0], v[vgprValuB_X0_I0+0+0+0:vgprValuB_X0_I0+0+0+0+1], v[vgprValuA_X0_I0+2+0+0:vgprValuA_X0_I0+2+0+0+1], a[4:7]
	;; [unrolled: 1-line block ×16, first 2 shown]


/* closeLoop loopL finalLoop=0 tailLoop=1 */
s_sub_i32 s[sgprLoopCounterL], s[sgprLoopCounterL], 0x10 // dec counterL (tailLoop)
s_add_u32 s[sgprOrigLoopCounter], s[sgprOrigLoopCounter], 0x10 // inc counterL
s_cmp_le_i32 s[sgprLoopCounterL], 0x0              // counterL<=0
s_cbranch_scc1 TailLoopEndL_7                      // exit LoopL


/* tail loop unroll iter 1 */


/* local read a */

_ds_load_b64 v[vgprValuA_X1_I0_D0+0:vgprValuA_X1_I0_D0+0+1], v[vgprLocalReadAddrA] offset:0 // L -> Reg lro=0 swapByteOffset=0 ti=128 vIdx=0 rIdx=0 oIdx=0 buffer=1 iui=0
_ds_load_b64 v[vgprValuA_X1_I0_D1+0:vgprValuA_X1_I0_D1+0+1], v[vgprLocalReadAddrA] offset:256 // L -> Reg lro=0 swapByteOffset=0 ti=128 vIdx=0 rIdx=1 oIdx=0 buffer=1 iui=0
_ds_load_b64 v[vgprValuA_X1_I0_D2+0:vgprValuA_X1_I0_D2+0+1], v[vgprLocalReadAddrA] offset:512 // L -> Reg lro=0 swapByteOffset=0 ti=128 vIdx=0 rIdx=2 oIdx=0 buffer=1 iui=0
_ds_load_b64 v[vgprValuA_X1_I0_D3+0:vgprValuA_X1_I0_D3+0+1], v[vgprLocalReadAddrA] offset:768 // L -> Reg lro=0 swapByteOffset=0 ti=128 vIdx=0 rIdx=3 oIdx=0 buffer=1 iui=0


/* local read b */

_ds_load_b32 v[vgprValuB_X1_I0_D0+0], v[vgprLocalReadAddrB] offset:0 // L -> Reg lro=0 swapByteOffset=0 ti=64 vIdx=0 rIdx=0 oIdx=0 buffer=1 iui=0
_ds_load_b32 v[vgprValuB_X1_I0_D1+0], v[vgprLocalReadAddrB] offset:256 // L -> Reg lro=0 swapByteOffset=0 ti=64 vIdx=0 rIdx=1 oIdx=0 buffer=1 iui=0
_ds_load_b32 v[vgprValuB_X1_I0_D2+0], v[vgprLocalReadAddrB] offset:512 // L -> Reg lro=0 swapByteOffset=0 ti=64 vIdx=0 rIdx=2 oIdx=0 buffer=1 iui=0
_ds_load_b32 v[vgprValuB_X1_I0_D3+0], v[vgprLocalReadAddrB] offset:768 // L -> Reg lro=0 swapByteOffset=0 ti=64 vIdx=0 rIdx=3 oIdx=0 buffer=1 iui=0
_ds_load_b32 v[vgprValuB_X1_I0_D0+1], v[vgprLocalReadAddrB] offset:128 // L -> Reg lro=0 swapByteOffset=0 ti=64 vIdx=1 rIdx=0 oIdx=0 buffer=1 iui=0
_ds_load_b32 v[vgprValuB_X1_I0_D1+1], v[vgprLocalReadAddrB] offset:384 // L -> Reg lro=0 swapByteOffset=0 ti=64 vIdx=1 rIdx=1 oIdx=0 buffer=1 iui=0
_ds_load_b32 v[vgprValuB_X1_I0_D2+1], v[vgprLocalReadAddrB] offset:640 // L -> Reg lro=0 swapByteOffset=0 ti=64 vIdx=1 rIdx=2 oIdx=0 buffer=1 iui=0
_ds_load_b32 v[vgprValuB_X1_I0_D3+1], v[vgprLocalReadAddrB] offset:896 // L -> Reg lro=0 swapByteOffset=0 ti=64 vIdx=1 rIdx=3 oIdx=0 buffer=1 iui=0


/* local read inc a */

s_mov_b32 s54, 0x1000                              // inc
_v_add_co_u32 v[vgprLocalReadAddrA], vcc, s54, v[vgprLocalReadAddrA] // lrA += 4096 (LSU*(MT+PAD)*bpe)


/* local read inc b */

s_mov_b32 s54, 0x1100                              // inc
_v_add_co_u32 v[vgprLocalReadAddrB], vcc, s54, v[vgprLocalReadAddrB] // lrB += 4352 (LSU*(MT+PAD)*bpe)

s_waitcnt lgkmcnt(0)                               // lgkmcnt=0 vmcnt=-14wait for local read

v_perm_b32 v[vgprValuA_X1_I0+0], v[vgprValuA_X1_I0_D1+0], v[vgprValuA_X1_I0_D0+0], s[sgprPackKForV0] // select K=01 for vector=0
v_perm_b32 v[vgprValuA_X1_I0+1], v[vgprValuA_X1_I0_D3+0], v[vgprValuA_X1_I0_D2+0], s[sgprPackKForV0] // select K=23 for vector=0
v_perm_b32 v[vgprValuA_X1_I0+2], v[vgprValuA_X1_I0_D1+0], v[vgprValuA_X1_I0_D0+0], s[sgprPackKForV1] // select K=01 for vector=1
v_perm_b32 v[vgprValuA_X1_I0+3], v[vgprValuA_X1_I0_D3+0], v[vgprValuA_X1_I0_D2+0], s[sgprPackKForV1] // select K=23 for vector=1
v_perm_b32 v[vgprValuA_X1_I0+4], v[vgprValuA_X1_I0_D1+1], v[vgprValuA_X1_I0_D0+1], s[sgprPackKForV0] // select K=01 for vector=0
v_perm_b32 v[vgprValuA_X1_I0+5], v[vgprValuA_X1_I0_D3+1], v[vgprValuA_X1_I0_D2+1], s[sgprPackKForV0] // select K=23 for vector=0
v_perm_b32 v[vgprValuA_X1_I0+6], v[vgprValuA_X1_I0_D1+1], v[vgprValuA_X1_I0_D0+1], s[sgprPackKForV1] // select K=01 for vector=1
v_perm_b32 v[vgprValuA_X1_I0+7], v[vgprValuA_X1_I0_D3+1], v[vgprValuA_X1_I0_D2+1], s[sgprPackKForV1] // select K=23 for vector=1
v_perm_b32 v[vgprValuB_X1_I0+0], v[vgprValuB_X1_I0_D1+0], v[vgprValuB_X1_I0_D0+0], s[sgprPackKForV0] // select K=01 for vector=0
v_perm_b32 v[vgprValuB_X1_I0+1], v[vgprValuB_X1_I0_D3+0], v[vgprValuB_X1_I0_D2+0], s[sgprPackKForV0] // select K=23 for vector=0
v_perm_b32 v[vgprValuB_X1_I0+2], v[vgprValuB_X1_I0_D1+0], v[vgprValuB_X1_I0_D0+0], s[sgprPackKForV1] // select K=01 for vector=1
v_perm_b32 v[vgprValuB_X1_I0+3], v[vgprValuB_X1_I0_D3+0], v[vgprValuB_X1_I0_D2+0], s[sgprPackKForV1] // select K=23 for vector=1
v_perm_b32 v[vgprValuB_X1_I0+4], v[vgprValuB_X1_I0_D1+1], v[vgprValuB_X1_I0_D0+1], s[sgprPackKForV0] // select K=01 for vector=0
v_perm_b32 v[vgprValuB_X1_I0+5], v[vgprValuB_X1_I0_D3+1], v[vgprValuB_X1_I0_D2+1], s[sgprPackKForV0] // select K=23 for vector=0
v_perm_b32 v[vgprValuB_X1_I0+6], v[vgprValuB_X1_I0_D1+1], v[vgprValuB_X1_I0_D0+1], s[sgprPackKForV1] // select K=01 for vector=1
v_perm_b32 v[vgprValuB_X1_I0+7], v[vgprValuB_X1_I0_D3+1], v[vgprValuB_X1_I0_D2+1], s[sgprPackKForV1] // select K=23 for vector=1

s_nop 1
v_mfma_f32_16x16x16_f16 a[0+0:3+0], v[vgprValuB_X1_I0+0+0+0:vgprValuB_X1_I0+0+0+0+1], v[vgprValuA_X1_I0+0+0+0:vgprValuA_X1_I0+0+0+0+1], a[0:3]
v_mfma_f32_16x16x16_f16 a[4+0:7+0], v[vgprValuB_X1_I0+0+0+0:vgprValuB_X1_I0+0+0+0+1], v[vgprValuA_X1_I0+2+0+0:vgprValuA_X1_I0+2+0+0+1], a[4:7]
	;; [unrolled: 1-line block ×16, first 2 shown]


/* closeLoop loopL finalLoop=1 tailLoop=1 */
s_sub_i32 s[sgprLoopCounterL], s[sgprLoopCounterL], 0x10 // dec counterL (tailLoop)
s_add_u32 s[sgprOrigLoopCounter], s[sgprOrigLoopCounter], 0x10 // inc counterL
s_cmp_le_i32 s[sgprLoopCounterL], 0x0              // counterL<=0
s_cbranch_scc0 TailLoopBeginL_6                    // restart LoopL
TailLoopEndL_7:

SkipTailLoopL_8:

Summation_End_30:
/* endSummation: add vgpr [0...70) to pool */
.set PackKForV0, UNDEF
.set PackKForV1, UNDEF

/* Mapping of Acc register -> C Vgpr register */


/* shift vector components d0 */

v_mov_b32 v1, s[sgprWorkGroup0]                    // 
v_mul_i32_i24 v1, -0x80, v1                        // wg*MT
_v_add_co_u32 v1, vcc, s[sgprSizesFree+0], v1      // wgMT = Size - wg*MT
v_mov_b32 v2, 0x80                                 // MT
v_min_u32 v1, v2, v1                               // wgMT = (wgMT < MT) ? wgMT : MT
v_lshrrev_b32 v0, 6, v[vgprSerial]                 // v0 = v[vgprSerial] / 64
v_and_b32 v3, 1, v0                                // v3 = v0 % 2
v_lshrrev_b32 v0, 6, v1                            // v0 = v1 / 64
v_and_b32 v4, 1, v0                                // v4 = v0 % 2
v_cmp_eq_u32 s[54:55], v4, v3                      // wave_id == block_belong_to_wave?
v_cndmask_b32 v1, v2, v1, s[54:55]                 // wgMT = (wgMT < MT) ? wgMT : MT

/* mbReg: which mb block need to shift, mb(matrixInstCoal(16) * VectorWidth(4)) */
v_lshrrev_b32 v2, 6, v1                            // v2 = v1 / 64
v_lshlrev_b32 v4, 0x0, v3                          // v4 = v3 * 1
_v_sub_u32 v2, v2, v4                              // 

/* gbReg: glvw block id */
v_lshrrev_b32 v4, 3, v1                            // v4 = v1 / 8

/* tgbReg: glvw block id */
v_lshrrev_b32 v0, 0, v[vgprSerial]                 // v0 = v[vgprSerial] / 1
v_and_b32 v5, 15, v0                               // v5 = v0 % 16
v_lshlrev_b32 v5, 0x2, v5                          // v5 = v5 * 4
v_lshrrev_b32 v5, 3, v5                            // v5 = v5 / 8
v_lshlrev_b32 v3, 0x3, v3                          // v3 = v3 * 8
_v_add_co_u32 v5, vcc, v3, v5                      // tgbReg = (tid_coal * continOut) / GLVW
_v_sub_u32 v4, v4, v5                              // 

/* vwReg: glvw in which vw block? */
v_and_b32 v3, 3, v1                                // permute register between threads
v_lshrrev_b32 v3, 3, v3                            // permute register between threads

/* rReg : reminder of M_size % GlobalLoadVectorWidth */
v_and_b32 v5, 7, v1                                // v5 = v1 % 8
v_cmp_eq_u32 vcc, v5, 0x1                          // wgMT%VW == 1
s_cbranch_vccnz label_0031                         // branch to shift d0 r=1
v_cmp_eq_u32 vcc, v5, 0x2                          // wgMT%VW == 2
s_cbranch_vccnz label_0034                         // branch to shift d0 r=2
v_cmp_eq_u32 vcc, v5, 0x3                          // wgMT%VW == 3
s_cbranch_vccnz label_0037                         // branch to shift d0 r=3
v_cmp_eq_u32 vcc, v5, 0x4                          // wgMT%VW == 4
s_cbranch_vccnz label_0040                         // branch to shift d0 r=4
v_cmp_eq_u32 vcc, v5, 0x5                          // wgMT%VW == 5
s_cbranch_vccnz label_0043                         // branch to shift d0 r=5
v_cmp_eq_u32 vcc, v5, 0x6                          // wgMT%VW == 6
s_cbranch_vccnz label_0046                         // branch to shift d0 r=6
v_cmp_eq_u32 vcc, v5, 0x7                          // wgMT%VW == 7
s_cbranch_vccnz label_0049                         // branch to shift d0 r=7
s_branch label_0052                                // no shifting

/******************************************/
/* shift d0 r=1                           */
/******************************************/
label_0031:
v_cmp_eq_u32 vcc, v2, 0x0                          // 
s_cbranch_vccnz label_0032                         // branch to shift d0 r1 mb0

/******************************************/
/* shift d0 r=2                           */
/******************************************/
label_0034:
v_cmp_eq_u32 vcc, v2, 0x0                          // 
s_cbranch_vccnz label_0035                         // branch to shift d0 r2 mb0

/******************************************/
/* shift d0 r=3                           */
/******************************************/
label_0037:
v_cmp_eq_u32 vcc, v2, 0x0                          // 
s_cbranch_vccnz label_0038                         // branch to shift d0 r3 mb0

/******************************************/
/* shift d0 r=4                           */
/******************************************/
label_0040:
v_cmp_eq_u32 vcc, v2, 0x0                          // 
s_cbranch_vccnz label_0041                         // branch to shift d0 r4 mb0

/******************************************/
/* shift d0 r=5                           */
/******************************************/
label_0043:
v_cmp_eq_u32 vcc, v2, 0x0                          // 
s_cbranch_vccnz label_0044                         // branch to shift d0 r5 mb0

/******************************************/
/* shift d0 r=6                           */
/******************************************/
label_0046:
v_cmp_eq_u32 vcc, v2, 0x0                          // 
s_cbranch_vccnz label_0047                         // branch to shift d0 r6 mb0

/******************************************/
/* shift d0 r=7                           */
/******************************************/
label_0049:
v_cmp_eq_u32 vcc, v2, 0x0                          // 
s_cbranch_vccnz label_0050                         // branch to shift d0 r7 mb0

/******************************************/
/* shift d0 r=1 mb=0                      */
/******************************************/
label_0032: // r1 mb0 
v_cmp_eq_u32 vcc, v3, 0x0                          // 
s_cbranch_vccnz label_0033                         // branch to shift d0 r1 mb0 vw0

/******************************************/
/* shift d0 r=2 mb=0                      */
/******************************************/
label_0035: // r2 mb0 
v_cmp_eq_u32 vcc, v3, 0x0                          // 
s_cbranch_vccnz label_0036                         // branch to shift d0 r2 mb0 vw0

/******************************************/
/* shift d0 r=3 mb=0                      */
/******************************************/
label_0038: // r3 mb0 
v_cmp_eq_u32 vcc, v3, 0x0                          // 
s_cbranch_vccnz label_0039                         // branch to shift d0 r3 mb0 vw0

/******************************************/
/* shift d0 r=4 mb=0                      */
/******************************************/
label_0041: // r4 mb0 
v_cmp_eq_u32 vcc, v3, 0x0                          // 
s_cbranch_vccnz label_0042                         // branch to shift d0 r4 mb0 vw0

/******************************************/
/* shift d0 r=5 mb=0                      */
/******************************************/
label_0044: // r5 mb0 
v_cmp_eq_u32 vcc, v3, 0x0                          // 
s_cbranch_vccnz label_0045                         // branch to shift d0 r5 mb0 vw0

/******************************************/
/* shift d0 r=6 mb=0                      */
/******************************************/
label_0047: // r6 mb0 
v_cmp_eq_u32 vcc, v3, 0x0                          // 
s_cbranch_vccnz label_0048                         // branch to shift d0 r6 mb0 vw0

/******************************************/
/* shift d0 r=7 mb=0                      */
/******************************************/
label_0050: // r7 mb0 
v_cmp_eq_u32 vcc, v3, 0x0                          // 
s_cbranch_vccnz label_0051                         // branch to shift d0 r7 mb0 vw0

/******************************************/
/* shift d0 r=1 mb=0 vw0                  */
/******************************************/
label_0033: // r1 mb0 vw0 
s_mov_b32 s54, 0                                   // 
_v_cmpx_eq_u32 s[54:55], v4, s54                   // is thread in edge glvw region
v_and_b32 v0, 63, v[vgprSerial]                    // permute register between threads
v_lshlrev_b32 v0, 2, v0                            // permute register between threads
v_accvgpr_read_b32 v5, acc12                       // glvw 1 mb 0 tt1 0 r 0
s_nop 1                                            // v_accvgpr read vgpr after write vgpr: 2 wait states
ds_bpermute_b32 v5, v0, v5, offset:4               // permute edge values
s_waitcnt 0                                        // wait for swizzle operation
v_accvgpr_write_b32 acc0, v5                       // 
v_accvgpr_read_b32 v5, acc28                       // glvw 1 mb 0 tt1 1 r 0
s_nop 1                                            // v_accvgpr read vgpr after write vgpr: 2 wait states
ds_bpermute_b32 v5, v0, v5, offset:4               // permute edge values
s_waitcnt 0                                        // wait for swizzle operation
v_accvgpr_write_b32 acc16, v5                      // 
v_accvgpr_read_b32 v5, acc13                       // glvw 1 mb 0 tt1 2 r 0
s_nop 1                                            // v_accvgpr read vgpr after write vgpr: 2 wait states
ds_bpermute_b32 v5, v0, v5, offset:4               // permute edge values
s_waitcnt 0                                        // wait for swizzle operation
v_accvgpr_write_b32 acc1, v5                       // 
v_accvgpr_read_b32 v5, acc29                       // glvw 1 mb 0 tt1 3 r 0
s_nop 1                                            // v_accvgpr read vgpr after write vgpr: 2 wait states
ds_bpermute_b32 v5, v0, v5, offset:4               // permute edge values
s_waitcnt 0                                        // wait for swizzle operation
v_accvgpr_write_b32 acc17, v5                      // 
v_accvgpr_read_b32 v5, acc14                       // glvw 1 mb 0 tt1 4 r 0
s_nop 1                                            // v_accvgpr read vgpr after write vgpr: 2 wait states
ds_bpermute_b32 v5, v0, v5, offset:4               // permute edge values
s_waitcnt 0                                        // wait for swizzle operation
v_accvgpr_write_b32 acc2, v5                       // 
v_accvgpr_read_b32 v5, acc30                       // glvw 1 mb 0 tt1 5 r 0
s_nop 1                                            // v_accvgpr read vgpr after write vgpr: 2 wait states
ds_bpermute_b32 v5, v0, v5, offset:4               // permute edge values
s_waitcnt 0                                        // wait for swizzle operation
v_accvgpr_write_b32 acc18, v5                      // 
v_accvgpr_read_b32 v5, acc15                       // glvw 1 mb 0 tt1 6 r 0
s_nop 1                                            // v_accvgpr read vgpr after write vgpr: 2 wait states
ds_bpermute_b32 v5, v0, v5, offset:4               // permute edge values
s_waitcnt 0                                        // wait for swizzle operation
v_accvgpr_write_b32 acc3, v5                       // 
v_accvgpr_read_b32 v5, acc31                       // glvw 1 mb 0 tt1 7 r 0
s_nop 1                                            // v_accvgpr read vgpr after write vgpr: 2 wait states
ds_bpermute_b32 v5, v0, v5, offset:4               // permute edge values
s_waitcnt 0                                        // wait for swizzle operation
v_accvgpr_write_b32 acc19, v5                      // 
v_accvgpr_read_b32 v5, acc44                       // glvw 1 mb 0 tt1 8 r 0
s_nop 1                                            // v_accvgpr read vgpr after write vgpr: 2 wait states
ds_bpermute_b32 v5, v0, v5, offset:4               // permute edge values
s_waitcnt 0                                        // wait for swizzle operation
v_accvgpr_write_b32 acc32, v5                      // 
v_accvgpr_read_b32 v5, acc60                       // glvw 1 mb 0 tt1 9 r 0
s_nop 1                                            // v_accvgpr read vgpr after write vgpr: 2 wait states
ds_bpermute_b32 v5, v0, v5, offset:4               // permute edge values
s_waitcnt 0                                        // wait for swizzle operation
v_accvgpr_write_b32 acc48, v5                      // 
v_accvgpr_read_b32 v5, acc45                       // glvw 1 mb 0 tt1 10 r 0
s_nop 1                                            // v_accvgpr read vgpr after write vgpr: 2 wait states
ds_bpermute_b32 v5, v0, v5, offset:4               // permute edge values
s_waitcnt 0                                        // wait for swizzle operation
v_accvgpr_write_b32 acc33, v5                      // 
v_accvgpr_read_b32 v5, acc61                       // glvw 1 mb 0 tt1 11 r 0
s_nop 1                                            // v_accvgpr read vgpr after write vgpr: 2 wait states
ds_bpermute_b32 v5, v0, v5, offset:4               // permute edge values
s_waitcnt 0                                        // wait for swizzle operation
v_accvgpr_write_b32 acc49, v5                      // 
v_accvgpr_read_b32 v5, acc46                       // glvw 1 mb 0 tt1 12 r 0
s_nop 1                                            // v_accvgpr read vgpr after write vgpr: 2 wait states
ds_bpermute_b32 v5, v0, v5, offset:4               // permute edge values
s_waitcnt 0                                        // wait for swizzle operation
v_accvgpr_write_b32 acc34, v5                      // 
v_accvgpr_read_b32 v5, acc62                       // glvw 1 mb 0 tt1 13 r 0
s_nop 1                                            // v_accvgpr read vgpr after write vgpr: 2 wait states
ds_bpermute_b32 v5, v0, v5, offset:4               // permute edge values
s_waitcnt 0                                        // wait for swizzle operation
v_accvgpr_write_b32 acc50, v5                      // 
v_accvgpr_read_b32 v5, acc47                       // glvw 1 mb 0 tt1 14 r 0
s_nop 1                                            // v_accvgpr read vgpr after write vgpr: 2 wait states
ds_bpermute_b32 v5, v0, v5, offset:4               // permute edge values
s_waitcnt 0                                        // wait for swizzle operation
v_accvgpr_write_b32 acc35, v5                      // 
v_accvgpr_read_b32 v5, acc63                       // glvw 1 mb 0 tt1 15 r 0
s_nop 1                                            // v_accvgpr read vgpr after write vgpr: 2 wait states
ds_bpermute_b32 v5, v0, v5, offset:4               // permute edge values
s_waitcnt 0                                        // wait for swizzle operation
v_accvgpr_write_b32 acc51, v5                      // 
s_mov_b64 s[54:55], 0xFFFFFFFFFFFFFFFF             // to restore all threads active
s_or_saveexec_b64 vcc, s[54:55]                    // all threads active
s_branch label_0052                                // done shifting


/******************************************/
/* shift d0 r=2 mb=0 vw0                  */
/******************************************/
label_0036: // r2 mb0 vw0 
s_mov_b32 s54, 0                                   // 
_v_cmpx_eq_u32 s[54:55], v4, s54                   // is thread in edge glvw region
v_and_b32 v0, 63, v[vgprSerial]                    // permute register between threads
v_lshlrev_b32 v0, 2, v0                            // permute register between threads
v_accvgpr_read_b32 v5, acc8                        // glvw 2 mb 0 tt1 0 r 0
v_accvgpr_read_b32 v6, acc12                       // glvw 2 mb 0 tt1 0 r 0
s_nop 1                                            // v_accvgpr read vgpr after write vgpr: 2 wait states
ds_bpermute_b32 v5, v0, v5, offset:4               // permute edge values
ds_bpermute_b32 v6, v0, v6, offset:4               // permute edge values
s_waitcnt 0                                        // wait for swizzle operation
v_accvgpr_write_b32 acc0, v5                       // 
v_accvgpr_write_b32 acc4, v6                       // 
v_accvgpr_read_b32 v5, acc24                       // glvw 2 mb 0 tt1 1 r 0
v_accvgpr_read_b32 v6, acc28                       // glvw 2 mb 0 tt1 1 r 0
s_nop 1                                            // v_accvgpr read vgpr after write vgpr: 2 wait states
ds_bpermute_b32 v5, v0, v5, offset:4               // permute edge values
ds_bpermute_b32 v6, v0, v6, offset:4               // permute edge values
s_waitcnt 0                                        // wait for swizzle operation
v_accvgpr_write_b32 acc16, v5                      // 
v_accvgpr_write_b32 acc20, v6                      // 
v_accvgpr_read_b32 v5, acc9                        // glvw 2 mb 0 tt1 2 r 0
v_accvgpr_read_b32 v6, acc13                       // glvw 2 mb 0 tt1 2 r 0
s_nop 1                                            // v_accvgpr read vgpr after write vgpr: 2 wait states
ds_bpermute_b32 v5, v0, v5, offset:4               // permute edge values
ds_bpermute_b32 v6, v0, v6, offset:4               // permute edge values
s_waitcnt 0                                        // wait for swizzle operation
v_accvgpr_write_b32 acc1, v5                       // 
v_accvgpr_write_b32 acc5, v6                       // 
v_accvgpr_read_b32 v5, acc25                       // glvw 2 mb 0 tt1 3 r 0
v_accvgpr_read_b32 v6, acc29                       // glvw 2 mb 0 tt1 3 r 0
s_nop 1                                            // v_accvgpr read vgpr after write vgpr: 2 wait states
ds_bpermute_b32 v5, v0, v5, offset:4               // permute edge values
ds_bpermute_b32 v6, v0, v6, offset:4               // permute edge values
s_waitcnt 0                                        // wait for swizzle operation
v_accvgpr_write_b32 acc17, v5                      // 
v_accvgpr_write_b32 acc21, v6                      // 
v_accvgpr_read_b32 v5, acc10                       // glvw 2 mb 0 tt1 4 r 0
v_accvgpr_read_b32 v6, acc14                       // glvw 2 mb 0 tt1 4 r 0
s_nop 1                                            // v_accvgpr read vgpr after write vgpr: 2 wait states
ds_bpermute_b32 v5, v0, v5, offset:4               // permute edge values
ds_bpermute_b32 v6, v0, v6, offset:4               // permute edge values
s_waitcnt 0                                        // wait for swizzle operation
v_accvgpr_write_b32 acc2, v5                       // 
v_accvgpr_write_b32 acc6, v6                       // 
v_accvgpr_read_b32 v5, acc26                       // glvw 2 mb 0 tt1 5 r 0
v_accvgpr_read_b32 v6, acc30                       // glvw 2 mb 0 tt1 5 r 0
s_nop 1                                            // v_accvgpr read vgpr after write vgpr: 2 wait states
ds_bpermute_b32 v5, v0, v5, offset:4               // permute edge values
ds_bpermute_b32 v6, v0, v6, offset:4               // permute edge values
s_waitcnt 0                                        // wait for swizzle operation
v_accvgpr_write_b32 acc18, v5                      // 
v_accvgpr_write_b32 acc22, v6                      // 
v_accvgpr_read_b32 v5, acc11                       // glvw 2 mb 0 tt1 6 r 0
v_accvgpr_read_b32 v6, acc15                       // glvw 2 mb 0 tt1 6 r 0
s_nop 1                                            // v_accvgpr read vgpr after write vgpr: 2 wait states
ds_bpermute_b32 v5, v0, v5, offset:4               // permute edge values
ds_bpermute_b32 v6, v0, v6, offset:4               // permute edge values
s_waitcnt 0                                        // wait for swizzle operation
v_accvgpr_write_b32 acc3, v5                       // 
v_accvgpr_write_b32 acc7, v6                       // 
v_accvgpr_read_b32 v5, acc27                       // glvw 2 mb 0 tt1 7 r 0
v_accvgpr_read_b32 v6, acc31                       // glvw 2 mb 0 tt1 7 r 0
s_nop 1                                            // v_accvgpr read vgpr after write vgpr: 2 wait states
ds_bpermute_b32 v5, v0, v5, offset:4               // permute edge values
ds_bpermute_b32 v6, v0, v6, offset:4               // permute edge values
s_waitcnt 0                                        // wait for swizzle operation
v_accvgpr_write_b32 acc19, v5                      // 
v_accvgpr_write_b32 acc23, v6                      // 
v_accvgpr_read_b32 v5, acc40                       // glvw 2 mb 0 tt1 8 r 0
v_accvgpr_read_b32 v6, acc44                       // glvw 2 mb 0 tt1 8 r 0
s_nop 1                                            // v_accvgpr read vgpr after write vgpr: 2 wait states
ds_bpermute_b32 v5, v0, v5, offset:4               // permute edge values
ds_bpermute_b32 v6, v0, v6, offset:4               // permute edge values
s_waitcnt 0                                        // wait for swizzle operation
v_accvgpr_write_b32 acc32, v5                      // 
v_accvgpr_write_b32 acc36, v6                      // 
v_accvgpr_read_b32 v5, acc56                       // glvw 2 mb 0 tt1 9 r 0
v_accvgpr_read_b32 v6, acc60                       // glvw 2 mb 0 tt1 9 r 0
s_nop 1                                            // v_accvgpr read vgpr after write vgpr: 2 wait states
ds_bpermute_b32 v5, v0, v5, offset:4               // permute edge values
ds_bpermute_b32 v6, v0, v6, offset:4               // permute edge values
s_waitcnt 0                                        // wait for swizzle operation
v_accvgpr_write_b32 acc48, v5                      // 
v_accvgpr_write_b32 acc52, v6                      // 
v_accvgpr_read_b32 v5, acc41                       // glvw 2 mb 0 tt1 10 r 0
v_accvgpr_read_b32 v6, acc45                       // glvw 2 mb 0 tt1 10 r 0
s_nop 1                                            // v_accvgpr read vgpr after write vgpr: 2 wait states
ds_bpermute_b32 v5, v0, v5, offset:4               // permute edge values
ds_bpermute_b32 v6, v0, v6, offset:4               // permute edge values
s_waitcnt 0                                        // wait for swizzle operation
v_accvgpr_write_b32 acc33, v5                      // 
v_accvgpr_write_b32 acc37, v6                      // 
v_accvgpr_read_b32 v5, acc57                       // glvw 2 mb 0 tt1 11 r 0
v_accvgpr_read_b32 v6, acc61                       // glvw 2 mb 0 tt1 11 r 0
s_nop 1                                            // v_accvgpr read vgpr after write vgpr: 2 wait states
ds_bpermute_b32 v5, v0, v5, offset:4               // permute edge values
ds_bpermute_b32 v6, v0, v6, offset:4               // permute edge values
s_waitcnt 0                                        // wait for swizzle operation
v_accvgpr_write_b32 acc49, v5                      // 
v_accvgpr_write_b32 acc53, v6                      // 
v_accvgpr_read_b32 v5, acc42                       // glvw 2 mb 0 tt1 12 r 0
v_accvgpr_read_b32 v6, acc46                       // glvw 2 mb 0 tt1 12 r 0
s_nop 1                                            // v_accvgpr read vgpr after write vgpr: 2 wait states
ds_bpermute_b32 v5, v0, v5, offset:4               // permute edge values
ds_bpermute_b32 v6, v0, v6, offset:4               // permute edge values
s_waitcnt 0                                        // wait for swizzle operation
v_accvgpr_write_b32 acc34, v5                      // 
v_accvgpr_write_b32 acc38, v6                      // 
v_accvgpr_read_b32 v5, acc58                       // glvw 2 mb 0 tt1 13 r 0
v_accvgpr_read_b32 v6, acc62                       // glvw 2 mb 0 tt1 13 r 0
s_nop 1                                            // v_accvgpr read vgpr after write vgpr: 2 wait states
ds_bpermute_b32 v5, v0, v5, offset:4               // permute edge values
ds_bpermute_b32 v6, v0, v6, offset:4               // permute edge values
s_waitcnt 0                                        // wait for swizzle operation
v_accvgpr_write_b32 acc50, v5                      // 
v_accvgpr_write_b32 acc54, v6                      // 
v_accvgpr_read_b32 v5, acc43                       // glvw 2 mb 0 tt1 14 r 0
v_accvgpr_read_b32 v6, acc47                       // glvw 2 mb 0 tt1 14 r 0
s_nop 1                                            // v_accvgpr read vgpr after write vgpr: 2 wait states
ds_bpermute_b32 v5, v0, v5, offset:4               // permute edge values
ds_bpermute_b32 v6, v0, v6, offset:4               // permute edge values
s_waitcnt 0                                        // wait for swizzle operation
v_accvgpr_write_b32 acc35, v5                      // 
v_accvgpr_write_b32 acc39, v6                      // 
v_accvgpr_read_b32 v5, acc59                       // glvw 2 mb 0 tt1 15 r 0
v_accvgpr_read_b32 v6, acc63                       // glvw 2 mb 0 tt1 15 r 0
s_nop 1                                            // v_accvgpr read vgpr after write vgpr: 2 wait states
ds_bpermute_b32 v5, v0, v5, offset:4               // permute edge values
ds_bpermute_b32 v6, v0, v6, offset:4               // permute edge values
s_waitcnt 0                                        // wait for swizzle operation
v_accvgpr_write_b32 acc51, v5                      // 
v_accvgpr_write_b32 acc55, v6                      // 
s_mov_b64 s[54:55], 0xFFFFFFFFFFFFFFFF             // to restore all threads active
s_or_saveexec_b64 vcc, s[54:55]                    // all threads active
s_branch label_0052                                // done shifting


/******************************************/
/* shift d0 r=3 mb=0 vw0                  */
/******************************************/
label_0039: // r3 mb0 vw0 
s_mov_b32 s54, 0                                   // 
_v_cmpx_eq_u32 s[54:55], v4, s54                   // is thread in edge glvw region
v_and_b32 v0, 63, v[vgprSerial]                    // permute register between threads
v_lshlrev_b32 v0, 2, v0                            // permute register between threads
v_accvgpr_read_b32 v5, acc4                        // glvw 3 mb 0 tt1 0 r 0
v_accvgpr_read_b32 v6, acc8                        // glvw 3 mb 0 tt1 0 r 0
v_accvgpr_read_b32 v7, acc12                       // glvw 3 mb 0 tt1 0 r 0
s_nop 1                                            // v_accvgpr read vgpr after write vgpr: 2 wait states
ds_bpermute_b32 v5, v0, v5, offset:4               // permute edge values
ds_bpermute_b32 v6, v0, v6, offset:4               // permute edge values
	;; [unrolled: 1-line block ×3, first 2 shown]
s_waitcnt 0                                        // wait for swizzle operation
v_accvgpr_write_b32 acc0, v5                       // 
v_accvgpr_write_b32 acc4, v6                       // 
v_accvgpr_write_b32 acc8, v7                       // 
v_accvgpr_read_b32 v5, acc20                       // glvw 3 mb 0 tt1 1 r 0
v_accvgpr_read_b32 v6, acc24                       // glvw 3 mb 0 tt1 1 r 0
v_accvgpr_read_b32 v7, acc28                       // glvw 3 mb 0 tt1 1 r 0
s_nop 1                                            // v_accvgpr read vgpr after write vgpr: 2 wait states
ds_bpermute_b32 v5, v0, v5, offset:4               // permute edge values
ds_bpermute_b32 v6, v0, v6, offset:4               // permute edge values
	;; [unrolled: 1-line block ×3, first 2 shown]
s_waitcnt 0                                        // wait for swizzle operation
v_accvgpr_write_b32 acc16, v5                      // 
v_accvgpr_write_b32 acc20, v6                      // 
v_accvgpr_write_b32 acc24, v7                      // 
v_accvgpr_read_b32 v5, acc5                        // glvw 3 mb 0 tt1 2 r 0
v_accvgpr_read_b32 v6, acc9                        // glvw 3 mb 0 tt1 2 r 0
v_accvgpr_read_b32 v7, acc13                       // glvw 3 mb 0 tt1 2 r 0
s_nop 1                                            // v_accvgpr read vgpr after write vgpr: 2 wait states
ds_bpermute_b32 v5, v0, v5, offset:4               // permute edge values
ds_bpermute_b32 v6, v0, v6, offset:4               // permute edge values
	;; [unrolled: 1-line block ×3, first 2 shown]
s_waitcnt 0                                        // wait for swizzle operation
v_accvgpr_write_b32 acc1, v5                       // 
v_accvgpr_write_b32 acc5, v6                       // 
v_accvgpr_write_b32 acc9, v7                       // 
v_accvgpr_read_b32 v5, acc21                       // glvw 3 mb 0 tt1 3 r 0
v_accvgpr_read_b32 v6, acc25                       // glvw 3 mb 0 tt1 3 r 0
v_accvgpr_read_b32 v7, acc29                       // glvw 3 mb 0 tt1 3 r 0
s_nop 1                                            // v_accvgpr read vgpr after write vgpr: 2 wait states
ds_bpermute_b32 v5, v0, v5, offset:4               // permute edge values
ds_bpermute_b32 v6, v0, v6, offset:4               // permute edge values
	;; [unrolled: 1-line block ×3, first 2 shown]
s_waitcnt 0                                        // wait for swizzle operation
v_accvgpr_write_b32 acc17, v5                      // 
v_accvgpr_write_b32 acc21, v6                      // 
v_accvgpr_write_b32 acc25, v7                      // 
v_accvgpr_read_b32 v5, acc6                        // glvw 3 mb 0 tt1 4 r 0
v_accvgpr_read_b32 v6, acc10                       // glvw 3 mb 0 tt1 4 r 0
v_accvgpr_read_b32 v7, acc14                       // glvw 3 mb 0 tt1 4 r 0
s_nop 1                                            // v_accvgpr read vgpr after write vgpr: 2 wait states
ds_bpermute_b32 v5, v0, v5, offset:4               // permute edge values
ds_bpermute_b32 v6, v0, v6, offset:4               // permute edge values
	;; [unrolled: 1-line block ×3, first 2 shown]
s_waitcnt 0                                        // wait for swizzle operation
v_accvgpr_write_b32 acc2, v5                       // 
v_accvgpr_write_b32 acc6, v6                       // 
v_accvgpr_write_b32 acc10, v7                      // 
v_accvgpr_read_b32 v5, acc22                       // glvw 3 mb 0 tt1 5 r 0
v_accvgpr_read_b32 v6, acc26                       // glvw 3 mb 0 tt1 5 r 0
v_accvgpr_read_b32 v7, acc30                       // glvw 3 mb 0 tt1 5 r 0
s_nop 1                                            // v_accvgpr read vgpr after write vgpr: 2 wait states
ds_bpermute_b32 v5, v0, v5, offset:4               // permute edge values
ds_bpermute_b32 v6, v0, v6, offset:4               // permute edge values
ds_bpermute_b32 v7, v0, v7, offset:4               // permute edge values
s_waitcnt 0                                        // wait for swizzle operation
v_accvgpr_write_b32 acc18, v5                      // 
v_accvgpr_write_b32 acc22, v6                      // 
v_accvgpr_write_b32 acc26, v7                      // 
v_accvgpr_read_b32 v5, acc7                        // glvw 3 mb 0 tt1 6 r 0
v_accvgpr_read_b32 v6, acc11                       // glvw 3 mb 0 tt1 6 r 0
v_accvgpr_read_b32 v7, acc15                       // glvw 3 mb 0 tt1 6 r 0
s_nop 1                                            // v_accvgpr read vgpr after write vgpr: 2 wait states
ds_bpermute_b32 v5, v0, v5, offset:4               // permute edge values
ds_bpermute_b32 v6, v0, v6, offset:4               // permute edge values
	;; [unrolled: 1-line block ×3, first 2 shown]
s_waitcnt 0                                        // wait for swizzle operation
v_accvgpr_write_b32 acc3, v5                       // 
v_accvgpr_write_b32 acc7, v6                       // 
v_accvgpr_write_b32 acc11, v7                      // 
v_accvgpr_read_b32 v5, acc23                       // glvw 3 mb 0 tt1 7 r 0
v_accvgpr_read_b32 v6, acc27                       // glvw 3 mb 0 tt1 7 r 0
v_accvgpr_read_b32 v7, acc31                       // glvw 3 mb 0 tt1 7 r 0
s_nop 1                                            // v_accvgpr read vgpr after write vgpr: 2 wait states
ds_bpermute_b32 v5, v0, v5, offset:4               // permute edge values
ds_bpermute_b32 v6, v0, v6, offset:4               // permute edge values
	;; [unrolled: 1-line block ×3, first 2 shown]
s_waitcnt 0                                        // wait for swizzle operation
v_accvgpr_write_b32 acc19, v5                      // 
v_accvgpr_write_b32 acc23, v6                      // 
v_accvgpr_write_b32 acc27, v7                      // 
v_accvgpr_read_b32 v5, acc36                       // glvw 3 mb 0 tt1 8 r 0
v_accvgpr_read_b32 v6, acc40                       // glvw 3 mb 0 tt1 8 r 0
v_accvgpr_read_b32 v7, acc44                       // glvw 3 mb 0 tt1 8 r 0
s_nop 1                                            // v_accvgpr read vgpr after write vgpr: 2 wait states
ds_bpermute_b32 v5, v0, v5, offset:4               // permute edge values
ds_bpermute_b32 v6, v0, v6, offset:4               // permute edge values
	;; [unrolled: 1-line block ×3, first 2 shown]
s_waitcnt 0                                        // wait for swizzle operation
v_accvgpr_write_b32 acc32, v5                      // 
v_accvgpr_write_b32 acc36, v6                      // 
v_accvgpr_write_b32 acc40, v7                      // 
v_accvgpr_read_b32 v5, acc52                       // glvw 3 mb 0 tt1 9 r 0
v_accvgpr_read_b32 v6, acc56                       // glvw 3 mb 0 tt1 9 r 0
v_accvgpr_read_b32 v7, acc60                       // glvw 3 mb 0 tt1 9 r 0
s_nop 1                                            // v_accvgpr read vgpr after write vgpr: 2 wait states
ds_bpermute_b32 v5, v0, v5, offset:4               // permute edge values
ds_bpermute_b32 v6, v0, v6, offset:4               // permute edge values
	;; [unrolled: 1-line block ×3, first 2 shown]
s_waitcnt 0                                        // wait for swizzle operation
v_accvgpr_write_b32 acc48, v5                      // 
v_accvgpr_write_b32 acc52, v6                      // 
v_accvgpr_write_b32 acc56, v7                      // 
v_accvgpr_read_b32 v5, acc37                       // glvw 3 mb 0 tt1 10 r 0
v_accvgpr_read_b32 v6, acc41                       // glvw 3 mb 0 tt1 10 r 0
v_accvgpr_read_b32 v7, acc45                       // glvw 3 mb 0 tt1 10 r 0
s_nop 1                                            // v_accvgpr read vgpr after write vgpr: 2 wait states
ds_bpermute_b32 v5, v0, v5, offset:4               // permute edge values
ds_bpermute_b32 v6, v0, v6, offset:4               // permute edge values
	;; [unrolled: 1-line block ×3, first 2 shown]
s_waitcnt 0                                        // wait for swizzle operation
v_accvgpr_write_b32 acc33, v5                      // 
v_accvgpr_write_b32 acc37, v6                      // 
v_accvgpr_write_b32 acc41, v7                      // 
v_accvgpr_read_b32 v5, acc53                       // glvw 3 mb 0 tt1 11 r 0
v_accvgpr_read_b32 v6, acc57                       // glvw 3 mb 0 tt1 11 r 0
v_accvgpr_read_b32 v7, acc61                       // glvw 3 mb 0 tt1 11 r 0
s_nop 1                                            // v_accvgpr read vgpr after write vgpr: 2 wait states
ds_bpermute_b32 v5, v0, v5, offset:4               // permute edge values
ds_bpermute_b32 v6, v0, v6, offset:4               // permute edge values
	;; [unrolled: 1-line block ×3, first 2 shown]
s_waitcnt 0                                        // wait for swizzle operation
v_accvgpr_write_b32 acc49, v5                      // 
v_accvgpr_write_b32 acc53, v6                      // 
v_accvgpr_write_b32 acc57, v7                      // 
v_accvgpr_read_b32 v5, acc38                       // glvw 3 mb 0 tt1 12 r 0
v_accvgpr_read_b32 v6, acc42                       // glvw 3 mb 0 tt1 12 r 0
v_accvgpr_read_b32 v7, acc46                       // glvw 3 mb 0 tt1 12 r 0
s_nop 1                                            // v_accvgpr read vgpr after write vgpr: 2 wait states
ds_bpermute_b32 v5, v0, v5, offset:4               // permute edge values
ds_bpermute_b32 v6, v0, v6, offset:4               // permute edge values
	;; [unrolled: 1-line block ×3, first 2 shown]
s_waitcnt 0                                        // wait for swizzle operation
v_accvgpr_write_b32 acc34, v5                      // 
v_accvgpr_write_b32 acc38, v6                      // 
v_accvgpr_write_b32 acc42, v7                      // 
v_accvgpr_read_b32 v5, acc54                       // glvw 3 mb 0 tt1 13 r 0
v_accvgpr_read_b32 v6, acc58                       // glvw 3 mb 0 tt1 13 r 0
v_accvgpr_read_b32 v7, acc62                       // glvw 3 mb 0 tt1 13 r 0
s_nop 1                                            // v_accvgpr read vgpr after write vgpr: 2 wait states
ds_bpermute_b32 v5, v0, v5, offset:4               // permute edge values
ds_bpermute_b32 v6, v0, v6, offset:4               // permute edge values
	;; [unrolled: 1-line block ×3, first 2 shown]
s_waitcnt 0                                        // wait for swizzle operation
v_accvgpr_write_b32 acc50, v5                      // 
v_accvgpr_write_b32 acc54, v6                      // 
v_accvgpr_write_b32 acc58, v7                      // 
v_accvgpr_read_b32 v5, acc39                       // glvw 3 mb 0 tt1 14 r 0
v_accvgpr_read_b32 v6, acc43                       // glvw 3 mb 0 tt1 14 r 0
v_accvgpr_read_b32 v7, acc47                       // glvw 3 mb 0 tt1 14 r 0
s_nop 1                                            // v_accvgpr read vgpr after write vgpr: 2 wait states
ds_bpermute_b32 v5, v0, v5, offset:4               // permute edge values
ds_bpermute_b32 v6, v0, v6, offset:4               // permute edge values
	;; [unrolled: 1-line block ×3, first 2 shown]
s_waitcnt 0                                        // wait for swizzle operation
v_accvgpr_write_b32 acc35, v5                      // 
v_accvgpr_write_b32 acc39, v6                      // 
v_accvgpr_write_b32 acc43, v7                      // 
v_accvgpr_read_b32 v5, acc55                       // glvw 3 mb 0 tt1 15 r 0
v_accvgpr_read_b32 v6, acc59                       // glvw 3 mb 0 tt1 15 r 0
v_accvgpr_read_b32 v7, acc63                       // glvw 3 mb 0 tt1 15 r 0
s_nop 1                                            // v_accvgpr read vgpr after write vgpr: 2 wait states
ds_bpermute_b32 v5, v0, v5, offset:4               // permute edge values
ds_bpermute_b32 v6, v0, v6, offset:4               // permute edge values
	;; [unrolled: 1-line block ×3, first 2 shown]
s_waitcnt 0                                        // wait for swizzle operation
v_accvgpr_write_b32 acc51, v5                      // 
v_accvgpr_write_b32 acc55, v6                      // 
v_accvgpr_write_b32 acc59, v7                      // 
s_mov_b64 s[54:55], 0xFFFFFFFFFFFFFFFF             // to restore all threads active
s_or_saveexec_b64 vcc, s[54:55]                    // all threads active
s_branch label_0052                                // done shifting


/******************************************/
/* shift d0 r=4 mb=0 vw0                  */
/******************************************/
label_0042: // r4 mb0 vw0 
s_mov_b32 s54, 0                                   // 
_v_cmpx_eq_u32 s[54:55], v4, s54                   // is thread in edge glvw region
v_and_b32 v0, 63, v[vgprSerial]                    // permute register between threads
v_lshlrev_b32 v0, 2, v0                            // permute register between threads
v_accvgpr_read_b32 v5, acc0                        // glvw 4 mb 0 tt1 0 r 0
v_accvgpr_read_b32 v6, acc4                        // glvw 4 mb 0 tt1 0 r 0
v_accvgpr_read_b32 v7, acc8                        // glvw 4 mb 0 tt1 0 r 0
v_accvgpr_read_b32 v8, acc12                       // glvw 4 mb 0 tt1 0 r 0
s_nop 1                                            // v_accvgpr read vgpr after write vgpr: 2 wait states
ds_bpermute_b32 v5, v0, v5, offset:4               // permute edge values
ds_bpermute_b32 v6, v0, v6, offset:4               // permute edge values
ds_bpermute_b32 v7, v0, v7, offset:4               // permute edge values
ds_bpermute_b32 v8, v0, v8, offset:4               // permute edge values
s_waitcnt 0                                        // wait for swizzle operation
v_accvgpr_write_b32 acc0, v5                       // 
v_accvgpr_write_b32 acc4, v6                       // 
v_accvgpr_write_b32 acc8, v7                       // 
v_accvgpr_write_b32 acc12, v8                      // 
v_accvgpr_read_b32 v5, acc16                       // glvw 4 mb 0 tt1 1 r 0
v_accvgpr_read_b32 v6, acc20                       // glvw 4 mb 0 tt1 1 r 0
v_accvgpr_read_b32 v7, acc24                       // glvw 4 mb 0 tt1 1 r 0
v_accvgpr_read_b32 v8, acc28                       // glvw 4 mb 0 tt1 1 r 0
s_nop 1                                            // v_accvgpr read vgpr after write vgpr: 2 wait states
ds_bpermute_b32 v5, v0, v5, offset:4               // permute edge values
ds_bpermute_b32 v6, v0, v6, offset:4               // permute edge values
	;; [unrolled: 1-line block ×4, first 2 shown]
s_waitcnt 0                                        // wait for swizzle operation
v_accvgpr_write_b32 acc16, v5                      // 
v_accvgpr_write_b32 acc20, v6                      // 
v_accvgpr_write_b32 acc24, v7                      // 
v_accvgpr_write_b32 acc28, v8                      // 
v_accvgpr_read_b32 v5, acc1                        // glvw 4 mb 0 tt1 2 r 0
v_accvgpr_read_b32 v6, acc5                        // glvw 4 mb 0 tt1 2 r 0
v_accvgpr_read_b32 v7, acc9                        // glvw 4 mb 0 tt1 2 r 0
v_accvgpr_read_b32 v8, acc13                       // glvw 4 mb 0 tt1 2 r 0
s_nop 1                                            // v_accvgpr read vgpr after write vgpr: 2 wait states
ds_bpermute_b32 v5, v0, v5, offset:4               // permute edge values
ds_bpermute_b32 v6, v0, v6, offset:4               // permute edge values
	;; [unrolled: 1-line block ×4, first 2 shown]
s_waitcnt 0                                        // wait for swizzle operation
v_accvgpr_write_b32 acc1, v5                       // 
v_accvgpr_write_b32 acc5, v6                       // 
v_accvgpr_write_b32 acc9, v7                       // 
v_accvgpr_write_b32 acc13, v8                      // 
v_accvgpr_read_b32 v5, acc17                       // glvw 4 mb 0 tt1 3 r 0
v_accvgpr_read_b32 v6, acc21                       // glvw 4 mb 0 tt1 3 r 0
v_accvgpr_read_b32 v7, acc25                       // glvw 4 mb 0 tt1 3 r 0
v_accvgpr_read_b32 v8, acc29                       // glvw 4 mb 0 tt1 3 r 0
s_nop 1                                            // v_accvgpr read vgpr after write vgpr: 2 wait states
ds_bpermute_b32 v5, v0, v5, offset:4               // permute edge values
ds_bpermute_b32 v6, v0, v6, offset:4               // permute edge values
	;; [unrolled: 1-line block ×4, first 2 shown]
s_waitcnt 0                                        // wait for swizzle operation
v_accvgpr_write_b32 acc17, v5                      // 
v_accvgpr_write_b32 acc21, v6                      // 
v_accvgpr_write_b32 acc25, v7                      // 
v_accvgpr_write_b32 acc29, v8                      // 
v_accvgpr_read_b32 v5, acc2                        // glvw 4 mb 0 tt1 4 r 0
v_accvgpr_read_b32 v6, acc6                        // glvw 4 mb 0 tt1 4 r 0
v_accvgpr_read_b32 v7, acc10                       // glvw 4 mb 0 tt1 4 r 0
v_accvgpr_read_b32 v8, acc14                       // glvw 4 mb 0 tt1 4 r 0
s_nop 1                                            // v_accvgpr read vgpr after write vgpr: 2 wait states
ds_bpermute_b32 v5, v0, v5, offset:4               // permute edge values
ds_bpermute_b32 v6, v0, v6, offset:4               // permute edge values
	;; [unrolled: 1-line block ×4, first 2 shown]
s_waitcnt 0                                        // wait for swizzle operation
v_accvgpr_write_b32 acc2, v5                       // 
v_accvgpr_write_b32 acc6, v6                       // 
v_accvgpr_write_b32 acc10, v7                      // 
v_accvgpr_write_b32 acc14, v8                      // 
v_accvgpr_read_b32 v5, acc18                       // glvw 4 mb 0 tt1 5 r 0
v_accvgpr_read_b32 v6, acc22                       // glvw 4 mb 0 tt1 5 r 0
v_accvgpr_read_b32 v7, acc26                       // glvw 4 mb 0 tt1 5 r 0
v_accvgpr_read_b32 v8, acc30                       // glvw 4 mb 0 tt1 5 r 0
s_nop 1                                            // v_accvgpr read vgpr after write vgpr: 2 wait states
ds_bpermute_b32 v5, v0, v5, offset:4               // permute edge values
ds_bpermute_b32 v6, v0, v6, offset:4               // permute edge values
	;; [unrolled: 1-line block ×4, first 2 shown]
s_waitcnt 0                                        // wait for swizzle operation
v_accvgpr_write_b32 acc18, v5                      // 
v_accvgpr_write_b32 acc22, v6                      // 
v_accvgpr_write_b32 acc26, v7                      // 
v_accvgpr_write_b32 acc30, v8                      // 
v_accvgpr_read_b32 v5, acc3                        // glvw 4 mb 0 tt1 6 r 0
v_accvgpr_read_b32 v6, acc7                        // glvw 4 mb 0 tt1 6 r 0
v_accvgpr_read_b32 v7, acc11                       // glvw 4 mb 0 tt1 6 r 0
v_accvgpr_read_b32 v8, acc15                       // glvw 4 mb 0 tt1 6 r 0
s_nop 1                                            // v_accvgpr read vgpr after write vgpr: 2 wait states
ds_bpermute_b32 v5, v0, v5, offset:4               // permute edge values
ds_bpermute_b32 v6, v0, v6, offset:4               // permute edge values
	;; [unrolled: 1-line block ×4, first 2 shown]
s_waitcnt 0                                        // wait for swizzle operation
v_accvgpr_write_b32 acc3, v5                       // 
v_accvgpr_write_b32 acc7, v6                       // 
v_accvgpr_write_b32 acc11, v7                      // 
v_accvgpr_write_b32 acc15, v8                      // 
v_accvgpr_read_b32 v5, acc19                       // glvw 4 mb 0 tt1 7 r 0
v_accvgpr_read_b32 v6, acc23                       // glvw 4 mb 0 tt1 7 r 0
v_accvgpr_read_b32 v7, acc27                       // glvw 4 mb 0 tt1 7 r 0
v_accvgpr_read_b32 v8, acc31                       // glvw 4 mb 0 tt1 7 r 0
s_nop 1                                            // v_accvgpr read vgpr after write vgpr: 2 wait states
ds_bpermute_b32 v5, v0, v5, offset:4               // permute edge values
ds_bpermute_b32 v6, v0, v6, offset:4               // permute edge values
	;; [unrolled: 1-line block ×4, first 2 shown]
s_waitcnt 0                                        // wait for swizzle operation
v_accvgpr_write_b32 acc19, v5                      // 
v_accvgpr_write_b32 acc23, v6                      // 
v_accvgpr_write_b32 acc27, v7                      // 
v_accvgpr_write_b32 acc31, v8                      // 
v_accvgpr_read_b32 v5, acc32                       // glvw 4 mb 0 tt1 8 r 0
v_accvgpr_read_b32 v6, acc36                       // glvw 4 mb 0 tt1 8 r 0
v_accvgpr_read_b32 v7, acc40                       // glvw 4 mb 0 tt1 8 r 0
v_accvgpr_read_b32 v8, acc44                       // glvw 4 mb 0 tt1 8 r 0
s_nop 1                                            // v_accvgpr read vgpr after write vgpr: 2 wait states
ds_bpermute_b32 v5, v0, v5, offset:4               // permute edge values
ds_bpermute_b32 v6, v0, v6, offset:4               // permute edge values
	;; [unrolled: 1-line block ×4, first 2 shown]
s_waitcnt 0                                        // wait for swizzle operation
v_accvgpr_write_b32 acc32, v5                      // 
v_accvgpr_write_b32 acc36, v6                      // 
v_accvgpr_write_b32 acc40, v7                      // 
v_accvgpr_write_b32 acc44, v8                      // 
v_accvgpr_read_b32 v5, acc48                       // glvw 4 mb 0 tt1 9 r 0
v_accvgpr_read_b32 v6, acc52                       // glvw 4 mb 0 tt1 9 r 0
v_accvgpr_read_b32 v7, acc56                       // glvw 4 mb 0 tt1 9 r 0
v_accvgpr_read_b32 v8, acc60                       // glvw 4 mb 0 tt1 9 r 0
s_nop 1                                            // v_accvgpr read vgpr after write vgpr: 2 wait states
ds_bpermute_b32 v5, v0, v5, offset:4               // permute edge values
ds_bpermute_b32 v6, v0, v6, offset:4               // permute edge values
	;; [unrolled: 1-line block ×4, first 2 shown]
s_waitcnt 0                                        // wait for swizzle operation
v_accvgpr_write_b32 acc48, v5                      // 
v_accvgpr_write_b32 acc52, v6                      // 
v_accvgpr_write_b32 acc56, v7                      // 
v_accvgpr_write_b32 acc60, v8                      // 
v_accvgpr_read_b32 v5, acc33                       // glvw 4 mb 0 tt1 10 r 0
v_accvgpr_read_b32 v6, acc37                       // glvw 4 mb 0 tt1 10 r 0
v_accvgpr_read_b32 v7, acc41                       // glvw 4 mb 0 tt1 10 r 0
v_accvgpr_read_b32 v8, acc45                       // glvw 4 mb 0 tt1 10 r 0
s_nop 1                                            // v_accvgpr read vgpr after write vgpr: 2 wait states
ds_bpermute_b32 v5, v0, v5, offset:4               // permute edge values
ds_bpermute_b32 v6, v0, v6, offset:4               // permute edge values
	;; [unrolled: 1-line block ×4, first 2 shown]
s_waitcnt 0                                        // wait for swizzle operation
v_accvgpr_write_b32 acc33, v5                      // 
v_accvgpr_write_b32 acc37, v6                      // 
v_accvgpr_write_b32 acc41, v7                      // 
v_accvgpr_write_b32 acc45, v8                      // 
v_accvgpr_read_b32 v5, acc49                       // glvw 4 mb 0 tt1 11 r 0
v_accvgpr_read_b32 v6, acc53                       // glvw 4 mb 0 tt1 11 r 0
v_accvgpr_read_b32 v7, acc57                       // glvw 4 mb 0 tt1 11 r 0
v_accvgpr_read_b32 v8, acc61                       // glvw 4 mb 0 tt1 11 r 0
s_nop 1                                            // v_accvgpr read vgpr after write vgpr: 2 wait states
ds_bpermute_b32 v5, v0, v5, offset:4               // permute edge values
ds_bpermute_b32 v6, v0, v6, offset:4               // permute edge values
	;; [unrolled: 1-line block ×4, first 2 shown]
s_waitcnt 0                                        // wait for swizzle operation
v_accvgpr_write_b32 acc49, v5                      // 
v_accvgpr_write_b32 acc53, v6                      // 
v_accvgpr_write_b32 acc57, v7                      // 
v_accvgpr_write_b32 acc61, v8                      // 
v_accvgpr_read_b32 v5, acc34                       // glvw 4 mb 0 tt1 12 r 0
v_accvgpr_read_b32 v6, acc38                       // glvw 4 mb 0 tt1 12 r 0
v_accvgpr_read_b32 v7, acc42                       // glvw 4 mb 0 tt1 12 r 0
v_accvgpr_read_b32 v8, acc46                       // glvw 4 mb 0 tt1 12 r 0
s_nop 1                                            // v_accvgpr read vgpr after write vgpr: 2 wait states
ds_bpermute_b32 v5, v0, v5, offset:4               // permute edge values
ds_bpermute_b32 v6, v0, v6, offset:4               // permute edge values
	;; [unrolled: 1-line block ×4, first 2 shown]
s_waitcnt 0                                        // wait for swizzle operation
v_accvgpr_write_b32 acc34, v5                      // 
v_accvgpr_write_b32 acc38, v6                      // 
v_accvgpr_write_b32 acc42, v7                      // 
v_accvgpr_write_b32 acc46, v8                      // 
v_accvgpr_read_b32 v5, acc50                       // glvw 4 mb 0 tt1 13 r 0
v_accvgpr_read_b32 v6, acc54                       // glvw 4 mb 0 tt1 13 r 0
v_accvgpr_read_b32 v7, acc58                       // glvw 4 mb 0 tt1 13 r 0
v_accvgpr_read_b32 v8, acc62                       // glvw 4 mb 0 tt1 13 r 0
s_nop 1                                            // v_accvgpr read vgpr after write vgpr: 2 wait states
ds_bpermute_b32 v5, v0, v5, offset:4               // permute edge values
ds_bpermute_b32 v6, v0, v6, offset:4               // permute edge values
	;; [unrolled: 1-line block ×4, first 2 shown]
s_waitcnt 0                                        // wait for swizzle operation
v_accvgpr_write_b32 acc50, v5                      // 
v_accvgpr_write_b32 acc54, v6                      // 
v_accvgpr_write_b32 acc58, v7                      // 
v_accvgpr_write_b32 acc62, v8                      // 
v_accvgpr_read_b32 v5, acc35                       // glvw 4 mb 0 tt1 14 r 0
v_accvgpr_read_b32 v6, acc39                       // glvw 4 mb 0 tt1 14 r 0
v_accvgpr_read_b32 v7, acc43                       // glvw 4 mb 0 tt1 14 r 0
v_accvgpr_read_b32 v8, acc47                       // glvw 4 mb 0 tt1 14 r 0
s_nop 1                                            // v_accvgpr read vgpr after write vgpr: 2 wait states
ds_bpermute_b32 v5, v0, v5, offset:4               // permute edge values
ds_bpermute_b32 v6, v0, v6, offset:4               // permute edge values
	;; [unrolled: 1-line block ×4, first 2 shown]
s_waitcnt 0                                        // wait for swizzle operation
v_accvgpr_write_b32 acc35, v5                      // 
v_accvgpr_write_b32 acc39, v6                      // 
v_accvgpr_write_b32 acc43, v7                      // 
v_accvgpr_write_b32 acc47, v8                      // 
v_accvgpr_read_b32 v5, acc51                       // glvw 4 mb 0 tt1 15 r 0
v_accvgpr_read_b32 v6, acc55                       // glvw 4 mb 0 tt1 15 r 0
v_accvgpr_read_b32 v7, acc59                       // glvw 4 mb 0 tt1 15 r 0
v_accvgpr_read_b32 v8, acc63                       // glvw 4 mb 0 tt1 15 r 0
s_nop 1                                            // v_accvgpr read vgpr after write vgpr: 2 wait states
ds_bpermute_b32 v5, v0, v5, offset:4               // permute edge values
ds_bpermute_b32 v6, v0, v6, offset:4               // permute edge values
	;; [unrolled: 1-line block ×4, first 2 shown]
s_waitcnt 0                                        // wait for swizzle operation
v_accvgpr_write_b32 acc51, v5                      // 
v_accvgpr_write_b32 acc55, v6                      // 
v_accvgpr_write_b32 acc59, v7                      // 
v_accvgpr_write_b32 acc63, v8                      // 
s_mov_b64 s[54:55], 0xFFFFFFFFFFFFFFFF             // to restore all threads active
s_or_saveexec_b64 vcc, s[54:55]                    // all threads active
s_branch label_0052                                // done shifting


/******************************************/
/* shift d0 r=5 mb=0 vw0                  */
/******************************************/
label_0045: // r5 mb0 vw0 
s_mov_b32 s54, 0                                   // 
_v_cmpx_eq_u32 s[54:55], v4, s54                   // is thread in edge glvw region
v_and_b32 v0, 63, v[vgprSerial]                    // permute register between threads
v_lshlrev_b32 v0, 2, v0                            // permute register between threads
v_accvgpr_read_b32 v5, acc12                       // glvw 5 mb 0 tt1 0 r 0
v_accvgpr_read_b32 v6, acc0                        // glvw 5 mb 0 tt1 0 r 0
v_accvgpr_read_b32 v7, acc4                        // glvw 5 mb 0 tt1 0 r 0
v_accvgpr_read_b32 v8, acc8                        // glvw 5 mb 0 tt1 0 r 0
s_nop 1                                            // v_accvgpr read vgpr after write vgpr: 2 wait states
ds_bpermute_b32 v6, v0, v6, offset:4               // permute edge values
ds_bpermute_b32 v7, v0, v7, offset:4               // permute edge values
	;; [unrolled: 1-line block ×3, first 2 shown]
s_waitcnt 0                                        // wait for swizzle operation
v_accvgpr_write_b32 acc0, v5                       // 
v_accvgpr_write_b32 acc4, v6                       // 
v_accvgpr_write_b32 acc8, v7                       // 
v_accvgpr_write_b32 acc12, v8                      // 
v_accvgpr_read_b32 v5, acc28                       // glvw 5 mb 0 tt1 1 r 0
v_accvgpr_read_b32 v6, acc16                       // glvw 5 mb 0 tt1 1 r 0
v_accvgpr_read_b32 v7, acc20                       // glvw 5 mb 0 tt1 1 r 0
v_accvgpr_read_b32 v8, acc24                       // glvw 5 mb 0 tt1 1 r 0
s_nop 1                                            // v_accvgpr read vgpr after write vgpr: 2 wait states
ds_bpermute_b32 v6, v0, v6, offset:4               // permute edge values
ds_bpermute_b32 v7, v0, v7, offset:4               // permute edge values
	;; [unrolled: 1-line block ×3, first 2 shown]
s_waitcnt 0                                        // wait for swizzle operation
v_accvgpr_write_b32 acc16, v5                      // 
v_accvgpr_write_b32 acc20, v6                      // 
v_accvgpr_write_b32 acc24, v7                      // 
v_accvgpr_write_b32 acc28, v8                      // 
v_accvgpr_read_b32 v5, acc13                       // glvw 5 mb 0 tt1 2 r 0
v_accvgpr_read_b32 v6, acc1                        // glvw 5 mb 0 tt1 2 r 0
v_accvgpr_read_b32 v7, acc5                        // glvw 5 mb 0 tt1 2 r 0
v_accvgpr_read_b32 v8, acc9                        // glvw 5 mb 0 tt1 2 r 0
s_nop 1                                            // v_accvgpr read vgpr after write vgpr: 2 wait states
ds_bpermute_b32 v6, v0, v6, offset:4               // permute edge values
ds_bpermute_b32 v7, v0, v7, offset:4               // permute edge values
	;; [unrolled: 1-line block ×3, first 2 shown]
s_waitcnt 0                                        // wait for swizzle operation
v_accvgpr_write_b32 acc1, v5                       // 
v_accvgpr_write_b32 acc5, v6                       // 
v_accvgpr_write_b32 acc9, v7                       // 
v_accvgpr_write_b32 acc13, v8                      // 
v_accvgpr_read_b32 v5, acc29                       // glvw 5 mb 0 tt1 3 r 0
v_accvgpr_read_b32 v6, acc17                       // glvw 5 mb 0 tt1 3 r 0
v_accvgpr_read_b32 v7, acc21                       // glvw 5 mb 0 tt1 3 r 0
v_accvgpr_read_b32 v8, acc25                       // glvw 5 mb 0 tt1 3 r 0
s_nop 1                                            // v_accvgpr read vgpr after write vgpr: 2 wait states
ds_bpermute_b32 v6, v0, v6, offset:4               // permute edge values
ds_bpermute_b32 v7, v0, v7, offset:4               // permute edge values
	;; [unrolled: 1-line block ×3, first 2 shown]
s_waitcnt 0                                        // wait for swizzle operation
v_accvgpr_write_b32 acc17, v5                      // 
v_accvgpr_write_b32 acc21, v6                      // 
v_accvgpr_write_b32 acc25, v7                      // 
v_accvgpr_write_b32 acc29, v8                      // 
v_accvgpr_read_b32 v5, acc14                       // glvw 5 mb 0 tt1 4 r 0
v_accvgpr_read_b32 v6, acc2                        // glvw 5 mb 0 tt1 4 r 0
v_accvgpr_read_b32 v7, acc6                        // glvw 5 mb 0 tt1 4 r 0
v_accvgpr_read_b32 v8, acc10                       // glvw 5 mb 0 tt1 4 r 0
s_nop 1                                            // v_accvgpr read vgpr after write vgpr: 2 wait states
ds_bpermute_b32 v6, v0, v6, offset:4               // permute edge values
ds_bpermute_b32 v7, v0, v7, offset:4               // permute edge values
	;; [unrolled: 1-line block ×3, first 2 shown]
s_waitcnt 0                                        // wait for swizzle operation
v_accvgpr_write_b32 acc2, v5                       // 
v_accvgpr_write_b32 acc6, v6                       // 
v_accvgpr_write_b32 acc10, v7                      // 
v_accvgpr_write_b32 acc14, v8                      // 
v_accvgpr_read_b32 v5, acc30                       // glvw 5 mb 0 tt1 5 r 0
v_accvgpr_read_b32 v6, acc18                       // glvw 5 mb 0 tt1 5 r 0
v_accvgpr_read_b32 v7, acc22                       // glvw 5 mb 0 tt1 5 r 0
v_accvgpr_read_b32 v8, acc26                       // glvw 5 mb 0 tt1 5 r 0
s_nop 1                                            // v_accvgpr read vgpr after write vgpr: 2 wait states
ds_bpermute_b32 v6, v0, v6, offset:4               // permute edge values
ds_bpermute_b32 v7, v0, v7, offset:4               // permute edge values
	;; [unrolled: 1-line block ×3, first 2 shown]
s_waitcnt 0                                        // wait for swizzle operation
v_accvgpr_write_b32 acc18, v5                      // 
v_accvgpr_write_b32 acc22, v6                      // 
v_accvgpr_write_b32 acc26, v7                      // 
v_accvgpr_write_b32 acc30, v8                      // 
v_accvgpr_read_b32 v5, acc15                       // glvw 5 mb 0 tt1 6 r 0
v_accvgpr_read_b32 v6, acc3                        // glvw 5 mb 0 tt1 6 r 0
v_accvgpr_read_b32 v7, acc7                        // glvw 5 mb 0 tt1 6 r 0
v_accvgpr_read_b32 v8, acc11                       // glvw 5 mb 0 tt1 6 r 0
s_nop 1                                            // v_accvgpr read vgpr after write vgpr: 2 wait states
ds_bpermute_b32 v6, v0, v6, offset:4               // permute edge values
ds_bpermute_b32 v7, v0, v7, offset:4               // permute edge values
	;; [unrolled: 1-line block ×3, first 2 shown]
s_waitcnt 0                                        // wait for swizzle operation
v_accvgpr_write_b32 acc3, v5                       // 
v_accvgpr_write_b32 acc7, v6                       // 
v_accvgpr_write_b32 acc11, v7                      // 
v_accvgpr_write_b32 acc15, v8                      // 
v_accvgpr_read_b32 v5, acc31                       // glvw 5 mb 0 tt1 7 r 0
v_accvgpr_read_b32 v6, acc19                       // glvw 5 mb 0 tt1 7 r 0
v_accvgpr_read_b32 v7, acc23                       // glvw 5 mb 0 tt1 7 r 0
v_accvgpr_read_b32 v8, acc27                       // glvw 5 mb 0 tt1 7 r 0
s_nop 1                                            // v_accvgpr read vgpr after write vgpr: 2 wait states
ds_bpermute_b32 v6, v0, v6, offset:4               // permute edge values
ds_bpermute_b32 v7, v0, v7, offset:4               // permute edge values
ds_bpermute_b32 v8, v0, v8, offset:4               // permute edge values
s_waitcnt 0                                        // wait for swizzle operation
v_accvgpr_write_b32 acc19, v5                      // 
v_accvgpr_write_b32 acc23, v6                      // 
v_accvgpr_write_b32 acc27, v7                      // 
v_accvgpr_write_b32 acc31, v8                      // 
v_accvgpr_read_b32 v5, acc44                       // glvw 5 mb 0 tt1 8 r 0
v_accvgpr_read_b32 v6, acc32                       // glvw 5 mb 0 tt1 8 r 0
v_accvgpr_read_b32 v7, acc36                       // glvw 5 mb 0 tt1 8 r 0
v_accvgpr_read_b32 v8, acc40                       // glvw 5 mb 0 tt1 8 r 0
s_nop 1                                            // v_accvgpr read vgpr after write vgpr: 2 wait states
ds_bpermute_b32 v6, v0, v6, offset:4               // permute edge values
ds_bpermute_b32 v7, v0, v7, offset:4               // permute edge values
	;; [unrolled: 1-line block ×3, first 2 shown]
s_waitcnt 0                                        // wait for swizzle operation
v_accvgpr_write_b32 acc32, v5                      // 
v_accvgpr_write_b32 acc36, v6                      // 
v_accvgpr_write_b32 acc40, v7                      // 
v_accvgpr_write_b32 acc44, v8                      // 
v_accvgpr_read_b32 v5, acc60                       // glvw 5 mb 0 tt1 9 r 0
v_accvgpr_read_b32 v6, acc48                       // glvw 5 mb 0 tt1 9 r 0
v_accvgpr_read_b32 v7, acc52                       // glvw 5 mb 0 tt1 9 r 0
v_accvgpr_read_b32 v8, acc56                       // glvw 5 mb 0 tt1 9 r 0
s_nop 1                                            // v_accvgpr read vgpr after write vgpr: 2 wait states
ds_bpermute_b32 v6, v0, v6, offset:4               // permute edge values
ds_bpermute_b32 v7, v0, v7, offset:4               // permute edge values
	;; [unrolled: 1-line block ×3, first 2 shown]
s_waitcnt 0                                        // wait for swizzle operation
v_accvgpr_write_b32 acc48, v5                      // 
v_accvgpr_write_b32 acc52, v6                      // 
v_accvgpr_write_b32 acc56, v7                      // 
v_accvgpr_write_b32 acc60, v8                      // 
v_accvgpr_read_b32 v5, acc45                       // glvw 5 mb 0 tt1 10 r 0
v_accvgpr_read_b32 v6, acc33                       // glvw 5 mb 0 tt1 10 r 0
v_accvgpr_read_b32 v7, acc37                       // glvw 5 mb 0 tt1 10 r 0
v_accvgpr_read_b32 v8, acc41                       // glvw 5 mb 0 tt1 10 r 0
s_nop 1                                            // v_accvgpr read vgpr after write vgpr: 2 wait states
ds_bpermute_b32 v6, v0, v6, offset:4               // permute edge values
ds_bpermute_b32 v7, v0, v7, offset:4               // permute edge values
	;; [unrolled: 1-line block ×3, first 2 shown]
s_waitcnt 0                                        // wait for swizzle operation
v_accvgpr_write_b32 acc33, v5                      // 
v_accvgpr_write_b32 acc37, v6                      // 
v_accvgpr_write_b32 acc41, v7                      // 
v_accvgpr_write_b32 acc45, v8                      // 
v_accvgpr_read_b32 v5, acc61                       // glvw 5 mb 0 tt1 11 r 0
v_accvgpr_read_b32 v6, acc49                       // glvw 5 mb 0 tt1 11 r 0
v_accvgpr_read_b32 v7, acc53                       // glvw 5 mb 0 tt1 11 r 0
v_accvgpr_read_b32 v8, acc57                       // glvw 5 mb 0 tt1 11 r 0
s_nop 1                                            // v_accvgpr read vgpr after write vgpr: 2 wait states
ds_bpermute_b32 v6, v0, v6, offset:4               // permute edge values
ds_bpermute_b32 v7, v0, v7, offset:4               // permute edge values
	;; [unrolled: 1-line block ×3, first 2 shown]
s_waitcnt 0                                        // wait for swizzle operation
v_accvgpr_write_b32 acc49, v5                      // 
v_accvgpr_write_b32 acc53, v6                      // 
v_accvgpr_write_b32 acc57, v7                      // 
v_accvgpr_write_b32 acc61, v8                      // 
v_accvgpr_read_b32 v5, acc46                       // glvw 5 mb 0 tt1 12 r 0
v_accvgpr_read_b32 v6, acc34                       // glvw 5 mb 0 tt1 12 r 0
v_accvgpr_read_b32 v7, acc38                       // glvw 5 mb 0 tt1 12 r 0
v_accvgpr_read_b32 v8, acc42                       // glvw 5 mb 0 tt1 12 r 0
s_nop 1                                            // v_accvgpr read vgpr after write vgpr: 2 wait states
ds_bpermute_b32 v6, v0, v6, offset:4               // permute edge values
ds_bpermute_b32 v7, v0, v7, offset:4               // permute edge values
	;; [unrolled: 1-line block ×3, first 2 shown]
s_waitcnt 0                                        // wait for swizzle operation
v_accvgpr_write_b32 acc34, v5                      // 
v_accvgpr_write_b32 acc38, v6                      // 
v_accvgpr_write_b32 acc42, v7                      // 
v_accvgpr_write_b32 acc46, v8                      // 
v_accvgpr_read_b32 v5, acc62                       // glvw 5 mb 0 tt1 13 r 0
v_accvgpr_read_b32 v6, acc50                       // glvw 5 mb 0 tt1 13 r 0
v_accvgpr_read_b32 v7, acc54                       // glvw 5 mb 0 tt1 13 r 0
v_accvgpr_read_b32 v8, acc58                       // glvw 5 mb 0 tt1 13 r 0
s_nop 1                                            // v_accvgpr read vgpr after write vgpr: 2 wait states
ds_bpermute_b32 v6, v0, v6, offset:4               // permute edge values
ds_bpermute_b32 v7, v0, v7, offset:4               // permute edge values
	;; [unrolled: 1-line block ×3, first 2 shown]
s_waitcnt 0                                        // wait for swizzle operation
v_accvgpr_write_b32 acc50, v5                      // 
v_accvgpr_write_b32 acc54, v6                      // 
v_accvgpr_write_b32 acc58, v7                      // 
v_accvgpr_write_b32 acc62, v8                      // 
v_accvgpr_read_b32 v5, acc47                       // glvw 5 mb 0 tt1 14 r 0
v_accvgpr_read_b32 v6, acc35                       // glvw 5 mb 0 tt1 14 r 0
v_accvgpr_read_b32 v7, acc39                       // glvw 5 mb 0 tt1 14 r 0
v_accvgpr_read_b32 v8, acc43                       // glvw 5 mb 0 tt1 14 r 0
s_nop 1                                            // v_accvgpr read vgpr after write vgpr: 2 wait states
ds_bpermute_b32 v6, v0, v6, offset:4               // permute edge values
ds_bpermute_b32 v7, v0, v7, offset:4               // permute edge values
	;; [unrolled: 1-line block ×3, first 2 shown]
s_waitcnt 0                                        // wait for swizzle operation
v_accvgpr_write_b32 acc35, v5                      // 
v_accvgpr_write_b32 acc39, v6                      // 
v_accvgpr_write_b32 acc43, v7                      // 
v_accvgpr_write_b32 acc47, v8                      // 
v_accvgpr_read_b32 v5, acc63                       // glvw 5 mb 0 tt1 15 r 0
v_accvgpr_read_b32 v6, acc51                       // glvw 5 mb 0 tt1 15 r 0
v_accvgpr_read_b32 v7, acc55                       // glvw 5 mb 0 tt1 15 r 0
v_accvgpr_read_b32 v8, acc59                       // glvw 5 mb 0 tt1 15 r 0
s_nop 1                                            // v_accvgpr read vgpr after write vgpr: 2 wait states
ds_bpermute_b32 v6, v0, v6, offset:4               // permute edge values
ds_bpermute_b32 v7, v0, v7, offset:4               // permute edge values
	;; [unrolled: 1-line block ×3, first 2 shown]
s_waitcnt 0                                        // wait for swizzle operation
v_accvgpr_write_b32 acc51, v5                      // 
v_accvgpr_write_b32 acc55, v6                      // 
v_accvgpr_write_b32 acc59, v7                      // 
v_accvgpr_write_b32 acc63, v8                      // 
s_mov_b64 s[54:55], 0xFFFFFFFFFFFFFFFF             // to restore all threads active
s_or_saveexec_b64 vcc, s[54:55]                    // all threads active
s_branch label_0052                                // done shifting


/******************************************/
/* shift d0 r=6 mb=0 vw0                  */
/******************************************/
label_0048: // r6 mb0 vw0 
s_mov_b32 s54, 0                                   // 
_v_cmpx_eq_u32 s[54:55], v4, s54                   // is thread in edge glvw region
v_and_b32 v0, 63, v[vgprSerial]                    // permute register between threads
v_lshlrev_b32 v0, 2, v0                            // permute register between threads
v_accvgpr_read_b32 v5, acc8                        // glvw 6 mb 0 tt1 0 r 0
v_accvgpr_read_b32 v6, acc12                       // glvw 6 mb 0 tt1 0 r 0
v_accvgpr_read_b32 v7, acc0                        // glvw 6 mb 0 tt1 0 r 0
v_accvgpr_read_b32 v8, acc4                        // glvw 6 mb 0 tt1 0 r 0
s_nop 1                                            // v_accvgpr read vgpr after write vgpr: 2 wait states
ds_bpermute_b32 v7, v0, v7, offset:4               // permute edge values
ds_bpermute_b32 v8, v0, v8, offset:4               // permute edge values
s_waitcnt 0                                        // wait for swizzle operation
v_accvgpr_write_b32 acc0, v5                       // 
v_accvgpr_write_b32 acc4, v6                       // 
v_accvgpr_write_b32 acc8, v7                       // 
v_accvgpr_write_b32 acc12, v8                      // 
v_accvgpr_read_b32 v5, acc24                       // glvw 6 mb 0 tt1 1 r 0
v_accvgpr_read_b32 v6, acc28                       // glvw 6 mb 0 tt1 1 r 0
v_accvgpr_read_b32 v7, acc16                       // glvw 6 mb 0 tt1 1 r 0
v_accvgpr_read_b32 v8, acc20                       // glvw 6 mb 0 tt1 1 r 0
s_nop 1                                            // v_accvgpr read vgpr after write vgpr: 2 wait states
ds_bpermute_b32 v7, v0, v7, offset:4               // permute edge values
ds_bpermute_b32 v8, v0, v8, offset:4               // permute edge values
s_waitcnt 0                                        // wait for swizzle operation
v_accvgpr_write_b32 acc16, v5                      // 
v_accvgpr_write_b32 acc20, v6                      // 
v_accvgpr_write_b32 acc24, v7                      // 
v_accvgpr_write_b32 acc28, v8                      // 
v_accvgpr_read_b32 v5, acc9                        // glvw 6 mb 0 tt1 2 r 0
v_accvgpr_read_b32 v6, acc13                       // glvw 6 mb 0 tt1 2 r 0
v_accvgpr_read_b32 v7, acc1                        // glvw 6 mb 0 tt1 2 r 0
v_accvgpr_read_b32 v8, acc5                        // glvw 6 mb 0 tt1 2 r 0
s_nop 1                                            // v_accvgpr read vgpr after write vgpr: 2 wait states
ds_bpermute_b32 v7, v0, v7, offset:4               // permute edge values
ds_bpermute_b32 v8, v0, v8, offset:4               // permute edge values
s_waitcnt 0                                        // wait for swizzle operation
v_accvgpr_write_b32 acc1, v5                       // 
v_accvgpr_write_b32 acc5, v6                       // 
v_accvgpr_write_b32 acc9, v7                       // 
v_accvgpr_write_b32 acc13, v8                      // 
v_accvgpr_read_b32 v5, acc25                       // glvw 6 mb 0 tt1 3 r 0
v_accvgpr_read_b32 v6, acc29                       // glvw 6 mb 0 tt1 3 r 0
v_accvgpr_read_b32 v7, acc17                       // glvw 6 mb 0 tt1 3 r 0
v_accvgpr_read_b32 v8, acc21                       // glvw 6 mb 0 tt1 3 r 0
s_nop 1                                            // v_accvgpr read vgpr after write vgpr: 2 wait states
ds_bpermute_b32 v7, v0, v7, offset:4               // permute edge values
ds_bpermute_b32 v8, v0, v8, offset:4               // permute edge values
s_waitcnt 0                                        // wait for swizzle operation
v_accvgpr_write_b32 acc17, v5                      // 
v_accvgpr_write_b32 acc21, v6                      // 
v_accvgpr_write_b32 acc25, v7                      // 
v_accvgpr_write_b32 acc29, v8                      // 
v_accvgpr_read_b32 v5, acc10                       // glvw 6 mb 0 tt1 4 r 0
v_accvgpr_read_b32 v6, acc14                       // glvw 6 mb 0 tt1 4 r 0
v_accvgpr_read_b32 v7, acc2                        // glvw 6 mb 0 tt1 4 r 0
v_accvgpr_read_b32 v8, acc6                        // glvw 6 mb 0 tt1 4 r 0
s_nop 1                                            // v_accvgpr read vgpr after write vgpr: 2 wait states
ds_bpermute_b32 v7, v0, v7, offset:4               // permute edge values
ds_bpermute_b32 v8, v0, v8, offset:4               // permute edge values
s_waitcnt 0                                        // wait for swizzle operation
v_accvgpr_write_b32 acc2, v5                       // 
v_accvgpr_write_b32 acc6, v6                       // 
v_accvgpr_write_b32 acc10, v7                      // 
v_accvgpr_write_b32 acc14, v8                      // 
v_accvgpr_read_b32 v5, acc26                       // glvw 6 mb 0 tt1 5 r 0
v_accvgpr_read_b32 v6, acc30                       // glvw 6 mb 0 tt1 5 r 0
v_accvgpr_read_b32 v7, acc18                       // glvw 6 mb 0 tt1 5 r 0
v_accvgpr_read_b32 v8, acc22                       // glvw 6 mb 0 tt1 5 r 0
s_nop 1                                            // v_accvgpr read vgpr after write vgpr: 2 wait states
ds_bpermute_b32 v7, v0, v7, offset:4               // permute edge values
ds_bpermute_b32 v8, v0, v8, offset:4               // permute edge values
s_waitcnt 0                                        // wait for swizzle operation
v_accvgpr_write_b32 acc18, v5                      // 
v_accvgpr_write_b32 acc22, v6                      // 
v_accvgpr_write_b32 acc26, v7                      // 
v_accvgpr_write_b32 acc30, v8                      // 
v_accvgpr_read_b32 v5, acc11                       // glvw 6 mb 0 tt1 6 r 0
v_accvgpr_read_b32 v6, acc15                       // glvw 6 mb 0 tt1 6 r 0
v_accvgpr_read_b32 v7, acc3                        // glvw 6 mb 0 tt1 6 r 0
v_accvgpr_read_b32 v8, acc7                        // glvw 6 mb 0 tt1 6 r 0
s_nop 1                                            // v_accvgpr read vgpr after write vgpr: 2 wait states
ds_bpermute_b32 v7, v0, v7, offset:4               // permute edge values
ds_bpermute_b32 v8, v0, v8, offset:4               // permute edge values
s_waitcnt 0                                        // wait for swizzle operation
v_accvgpr_write_b32 acc3, v5                       // 
v_accvgpr_write_b32 acc7, v6                       // 
v_accvgpr_write_b32 acc11, v7                      // 
v_accvgpr_write_b32 acc15, v8                      // 
v_accvgpr_read_b32 v5, acc27                       // glvw 6 mb 0 tt1 7 r 0
v_accvgpr_read_b32 v6, acc31                       // glvw 6 mb 0 tt1 7 r 0
v_accvgpr_read_b32 v7, acc19                       // glvw 6 mb 0 tt1 7 r 0
v_accvgpr_read_b32 v8, acc23                       // glvw 6 mb 0 tt1 7 r 0
s_nop 1                                            // v_accvgpr read vgpr after write vgpr: 2 wait states
ds_bpermute_b32 v7, v0, v7, offset:4               // permute edge values
ds_bpermute_b32 v8, v0, v8, offset:4               // permute edge values
s_waitcnt 0                                        // wait for swizzle operation
v_accvgpr_write_b32 acc19, v5                      // 
v_accvgpr_write_b32 acc23, v6                      // 
v_accvgpr_write_b32 acc27, v7                      // 
v_accvgpr_write_b32 acc31, v8                      // 
v_accvgpr_read_b32 v5, acc40                       // glvw 6 mb 0 tt1 8 r 0
v_accvgpr_read_b32 v6, acc44                       // glvw 6 mb 0 tt1 8 r 0
v_accvgpr_read_b32 v7, acc32                       // glvw 6 mb 0 tt1 8 r 0
v_accvgpr_read_b32 v8, acc36                       // glvw 6 mb 0 tt1 8 r 0
s_nop 1                                            // v_accvgpr read vgpr after write vgpr: 2 wait states
ds_bpermute_b32 v7, v0, v7, offset:4               // permute edge values
ds_bpermute_b32 v8, v0, v8, offset:4               // permute edge values
s_waitcnt 0                                        // wait for swizzle operation
v_accvgpr_write_b32 acc32, v5                      // 
v_accvgpr_write_b32 acc36, v6                      // 
v_accvgpr_write_b32 acc40, v7                      // 
v_accvgpr_write_b32 acc44, v8                      // 
v_accvgpr_read_b32 v5, acc56                       // glvw 6 mb 0 tt1 9 r 0
v_accvgpr_read_b32 v6, acc60                       // glvw 6 mb 0 tt1 9 r 0
v_accvgpr_read_b32 v7, acc48                       // glvw 6 mb 0 tt1 9 r 0
v_accvgpr_read_b32 v8, acc52                       // glvw 6 mb 0 tt1 9 r 0
s_nop 1                                            // v_accvgpr read vgpr after write vgpr: 2 wait states
ds_bpermute_b32 v7, v0, v7, offset:4               // permute edge values
ds_bpermute_b32 v8, v0, v8, offset:4               // permute edge values
s_waitcnt 0                                        // wait for swizzle operation
v_accvgpr_write_b32 acc48, v5                      // 
v_accvgpr_write_b32 acc52, v6                      // 
v_accvgpr_write_b32 acc56, v7                      // 
v_accvgpr_write_b32 acc60, v8                      // 
v_accvgpr_read_b32 v5, acc41                       // glvw 6 mb 0 tt1 10 r 0
v_accvgpr_read_b32 v6, acc45                       // glvw 6 mb 0 tt1 10 r 0
v_accvgpr_read_b32 v7, acc33                       // glvw 6 mb 0 tt1 10 r 0
v_accvgpr_read_b32 v8, acc37                       // glvw 6 mb 0 tt1 10 r 0
s_nop 1                                            // v_accvgpr read vgpr after write vgpr: 2 wait states
ds_bpermute_b32 v7, v0, v7, offset:4               // permute edge values
ds_bpermute_b32 v8, v0, v8, offset:4               // permute edge values
s_waitcnt 0                                        // wait for swizzle operation
v_accvgpr_write_b32 acc33, v5                      // 
v_accvgpr_write_b32 acc37, v6                      // 
v_accvgpr_write_b32 acc41, v7                      // 
v_accvgpr_write_b32 acc45, v8                      // 
v_accvgpr_read_b32 v5, acc57                       // glvw 6 mb 0 tt1 11 r 0
v_accvgpr_read_b32 v6, acc61                       // glvw 6 mb 0 tt1 11 r 0
v_accvgpr_read_b32 v7, acc49                       // glvw 6 mb 0 tt1 11 r 0
v_accvgpr_read_b32 v8, acc53                       // glvw 6 mb 0 tt1 11 r 0
s_nop 1                                            // v_accvgpr read vgpr after write vgpr: 2 wait states
ds_bpermute_b32 v7, v0, v7, offset:4               // permute edge values
ds_bpermute_b32 v8, v0, v8, offset:4               // permute edge values
s_waitcnt 0                                        // wait for swizzle operation
v_accvgpr_write_b32 acc49, v5                      // 
v_accvgpr_write_b32 acc53, v6                      // 
v_accvgpr_write_b32 acc57, v7                      // 
v_accvgpr_write_b32 acc61, v8                      // 
v_accvgpr_read_b32 v5, acc42                       // glvw 6 mb 0 tt1 12 r 0
v_accvgpr_read_b32 v6, acc46                       // glvw 6 mb 0 tt1 12 r 0
v_accvgpr_read_b32 v7, acc34                       // glvw 6 mb 0 tt1 12 r 0
v_accvgpr_read_b32 v8, acc38                       // glvw 6 mb 0 tt1 12 r 0
s_nop 1                                            // v_accvgpr read vgpr after write vgpr: 2 wait states
ds_bpermute_b32 v7, v0, v7, offset:4               // permute edge values
ds_bpermute_b32 v8, v0, v8, offset:4               // permute edge values
s_waitcnt 0                                        // wait for swizzle operation
v_accvgpr_write_b32 acc34, v5                      // 
v_accvgpr_write_b32 acc38, v6                      // 
v_accvgpr_write_b32 acc42, v7                      // 
v_accvgpr_write_b32 acc46, v8                      // 
v_accvgpr_read_b32 v5, acc58                       // glvw 6 mb 0 tt1 13 r 0
v_accvgpr_read_b32 v6, acc62                       // glvw 6 mb 0 tt1 13 r 0
v_accvgpr_read_b32 v7, acc50                       // glvw 6 mb 0 tt1 13 r 0
v_accvgpr_read_b32 v8, acc54                       // glvw 6 mb 0 tt1 13 r 0
s_nop 1                                            // v_accvgpr read vgpr after write vgpr: 2 wait states
ds_bpermute_b32 v7, v0, v7, offset:4               // permute edge values
ds_bpermute_b32 v8, v0, v8, offset:4               // permute edge values
s_waitcnt 0                                        // wait for swizzle operation
v_accvgpr_write_b32 acc50, v5                      // 
v_accvgpr_write_b32 acc54, v6                      // 
v_accvgpr_write_b32 acc58, v7                      // 
v_accvgpr_write_b32 acc62, v8                      // 
v_accvgpr_read_b32 v5, acc43                       // glvw 6 mb 0 tt1 14 r 0
v_accvgpr_read_b32 v6, acc47                       // glvw 6 mb 0 tt1 14 r 0
v_accvgpr_read_b32 v7, acc35                       // glvw 6 mb 0 tt1 14 r 0
v_accvgpr_read_b32 v8, acc39                       // glvw 6 mb 0 tt1 14 r 0
s_nop 1                                            // v_accvgpr read vgpr after write vgpr: 2 wait states
ds_bpermute_b32 v7, v0, v7, offset:4               // permute edge values
ds_bpermute_b32 v8, v0, v8, offset:4               // permute edge values
s_waitcnt 0                                        // wait for swizzle operation
v_accvgpr_write_b32 acc35, v5                      // 
v_accvgpr_write_b32 acc39, v6                      // 
v_accvgpr_write_b32 acc43, v7                      // 
v_accvgpr_write_b32 acc47, v8                      // 
v_accvgpr_read_b32 v5, acc59                       // glvw 6 mb 0 tt1 15 r 0
v_accvgpr_read_b32 v6, acc63                       // glvw 6 mb 0 tt1 15 r 0
v_accvgpr_read_b32 v7, acc51                       // glvw 6 mb 0 tt1 15 r 0
v_accvgpr_read_b32 v8, acc55                       // glvw 6 mb 0 tt1 15 r 0
s_nop 1                                            // v_accvgpr read vgpr after write vgpr: 2 wait states
ds_bpermute_b32 v7, v0, v7, offset:4               // permute edge values
ds_bpermute_b32 v8, v0, v8, offset:4               // permute edge values
s_waitcnt 0                                        // wait for swizzle operation
v_accvgpr_write_b32 acc51, v5                      // 
v_accvgpr_write_b32 acc55, v6                      // 
v_accvgpr_write_b32 acc59, v7                      // 
v_accvgpr_write_b32 acc63, v8                      // 
s_mov_b64 s[54:55], 0xFFFFFFFFFFFFFFFF             // to restore all threads active
s_or_saveexec_b64 vcc, s[54:55]                    // all threads active
s_branch label_0052                                // done shifting


/******************************************/
/* shift d0 r=7 mb=0 vw0                  */
/******************************************/
label_0051: // r7 mb0 vw0 
s_mov_b32 s54, 0                                   // 
_v_cmpx_eq_u32 s[54:55], v4, s54                   // is thread in edge glvw region
v_and_b32 v0, 63, v[vgprSerial]                    // permute register between threads
v_lshlrev_b32 v0, 2, v0                            // permute register between threads
v_accvgpr_read_b32 v5, acc4                        // glvw 7 mb 0 tt1 0 r 0
v_accvgpr_read_b32 v6, acc8                        // glvw 7 mb 0 tt1 0 r 0
v_accvgpr_read_b32 v7, acc12                       // glvw 7 mb 0 tt1 0 r 0
v_accvgpr_read_b32 v8, acc0                        // glvw 7 mb 0 tt1 0 r 0
s_nop 1                                            // v_accvgpr read vgpr after write vgpr: 2 wait states
ds_bpermute_b32 v8, v0, v8, offset:4               // permute edge values
s_waitcnt 0                                        // wait for swizzle operation
v_accvgpr_write_b32 acc0, v5                       // 
v_accvgpr_write_b32 acc4, v6                       // 
v_accvgpr_write_b32 acc8, v7                       // 
v_accvgpr_write_b32 acc12, v8                      // 
v_accvgpr_read_b32 v5, acc20                       // glvw 7 mb 0 tt1 1 r 0
v_accvgpr_read_b32 v6, acc24                       // glvw 7 mb 0 tt1 1 r 0
v_accvgpr_read_b32 v7, acc28                       // glvw 7 mb 0 tt1 1 r 0
v_accvgpr_read_b32 v8, acc16                       // glvw 7 mb 0 tt1 1 r 0
s_nop 1                                            // v_accvgpr read vgpr after write vgpr: 2 wait states
ds_bpermute_b32 v8, v0, v8, offset:4               // permute edge values
s_waitcnt 0                                        // wait for swizzle operation
v_accvgpr_write_b32 acc16, v5                      // 
v_accvgpr_write_b32 acc20, v6                      // 
v_accvgpr_write_b32 acc24, v7                      // 
v_accvgpr_write_b32 acc28, v8                      // 
v_accvgpr_read_b32 v5, acc5                        // glvw 7 mb 0 tt1 2 r 0
v_accvgpr_read_b32 v6, acc9                        // glvw 7 mb 0 tt1 2 r 0
v_accvgpr_read_b32 v7, acc13                       // glvw 7 mb 0 tt1 2 r 0
v_accvgpr_read_b32 v8, acc1                        // glvw 7 mb 0 tt1 2 r 0
s_nop 1                                            // v_accvgpr read vgpr after write vgpr: 2 wait states
ds_bpermute_b32 v8, v0, v8, offset:4               // permute edge values
s_waitcnt 0                                        // wait for swizzle operation
v_accvgpr_write_b32 acc1, v5                       // 
v_accvgpr_write_b32 acc5, v6                       // 
v_accvgpr_write_b32 acc9, v7                       // 
v_accvgpr_write_b32 acc13, v8                      // 
v_accvgpr_read_b32 v5, acc21                       // glvw 7 mb 0 tt1 3 r 0
v_accvgpr_read_b32 v6, acc25                       // glvw 7 mb 0 tt1 3 r 0
v_accvgpr_read_b32 v7, acc29                       // glvw 7 mb 0 tt1 3 r 0
v_accvgpr_read_b32 v8, acc17                       // glvw 7 mb 0 tt1 3 r 0
s_nop 1                                            // v_accvgpr read vgpr after write vgpr: 2 wait states
ds_bpermute_b32 v8, v0, v8, offset:4               // permute edge values
s_waitcnt 0                                        // wait for swizzle operation
v_accvgpr_write_b32 acc17, v5                      // 
v_accvgpr_write_b32 acc21, v6                      // 
v_accvgpr_write_b32 acc25, v7                      // 
v_accvgpr_write_b32 acc29, v8                      // 
v_accvgpr_read_b32 v5, acc6                        // glvw 7 mb 0 tt1 4 r 0
v_accvgpr_read_b32 v6, acc10                       // glvw 7 mb 0 tt1 4 r 0
v_accvgpr_read_b32 v7, acc14                       // glvw 7 mb 0 tt1 4 r 0
v_accvgpr_read_b32 v8, acc2                        // glvw 7 mb 0 tt1 4 r 0
s_nop 1                                            // v_accvgpr read vgpr after write vgpr: 2 wait states
ds_bpermute_b32 v8, v0, v8, offset:4               // permute edge values
s_waitcnt 0                                        // wait for swizzle operation
v_accvgpr_write_b32 acc2, v5                       // 
v_accvgpr_write_b32 acc6, v6                       // 
v_accvgpr_write_b32 acc10, v7                      // 
v_accvgpr_write_b32 acc14, v8                      // 
v_accvgpr_read_b32 v5, acc22                       // glvw 7 mb 0 tt1 5 r 0
v_accvgpr_read_b32 v6, acc26                       // glvw 7 mb 0 tt1 5 r 0
v_accvgpr_read_b32 v7, acc30                       // glvw 7 mb 0 tt1 5 r 0
v_accvgpr_read_b32 v8, acc18                       // glvw 7 mb 0 tt1 5 r 0
s_nop 1                                            // v_accvgpr read vgpr after write vgpr: 2 wait states
ds_bpermute_b32 v8, v0, v8, offset:4               // permute edge values
s_waitcnt 0                                        // wait for swizzle operation
v_accvgpr_write_b32 acc18, v5                      // 
v_accvgpr_write_b32 acc22, v6                      // 
v_accvgpr_write_b32 acc26, v7                      // 
v_accvgpr_write_b32 acc30, v8                      // 
v_accvgpr_read_b32 v5, acc7                        // glvw 7 mb 0 tt1 6 r 0
v_accvgpr_read_b32 v6, acc11                       // glvw 7 mb 0 tt1 6 r 0
v_accvgpr_read_b32 v7, acc15                       // glvw 7 mb 0 tt1 6 r 0
v_accvgpr_read_b32 v8, acc3                        // glvw 7 mb 0 tt1 6 r 0
s_nop 1                                            // v_accvgpr read vgpr after write vgpr: 2 wait states
ds_bpermute_b32 v8, v0, v8, offset:4               // permute edge values
s_waitcnt 0                                        // wait for swizzle operation
v_accvgpr_write_b32 acc3, v5                       // 
v_accvgpr_write_b32 acc7, v6                       // 
v_accvgpr_write_b32 acc11, v7                      // 
v_accvgpr_write_b32 acc15, v8                      // 
v_accvgpr_read_b32 v5, acc23                       // glvw 7 mb 0 tt1 7 r 0
v_accvgpr_read_b32 v6, acc27                       // glvw 7 mb 0 tt1 7 r 0
v_accvgpr_read_b32 v7, acc31                       // glvw 7 mb 0 tt1 7 r 0
v_accvgpr_read_b32 v8, acc19                       // glvw 7 mb 0 tt1 7 r 0
s_nop 1                                            // v_accvgpr read vgpr after write vgpr: 2 wait states
ds_bpermute_b32 v8, v0, v8, offset:4               // permute edge values
s_waitcnt 0                                        // wait for swizzle operation
v_accvgpr_write_b32 acc19, v5                      // 
v_accvgpr_write_b32 acc23, v6                      // 
v_accvgpr_write_b32 acc27, v7                      // 
v_accvgpr_write_b32 acc31, v8                      // 
v_accvgpr_read_b32 v5, acc36                       // glvw 7 mb 0 tt1 8 r 0
v_accvgpr_read_b32 v6, acc40                       // glvw 7 mb 0 tt1 8 r 0
v_accvgpr_read_b32 v7, acc44                       // glvw 7 mb 0 tt1 8 r 0
v_accvgpr_read_b32 v8, acc32                       // glvw 7 mb 0 tt1 8 r 0
s_nop 1                                            // v_accvgpr read vgpr after write vgpr: 2 wait states
ds_bpermute_b32 v8, v0, v8, offset:4               // permute edge values
s_waitcnt 0                                        // wait for swizzle operation
v_accvgpr_write_b32 acc32, v5                      // 
v_accvgpr_write_b32 acc36, v6                      // 
v_accvgpr_write_b32 acc40, v7                      // 
v_accvgpr_write_b32 acc44, v8                      // 
v_accvgpr_read_b32 v5, acc52                       // glvw 7 mb 0 tt1 9 r 0
v_accvgpr_read_b32 v6, acc56                       // glvw 7 mb 0 tt1 9 r 0
v_accvgpr_read_b32 v7, acc60                       // glvw 7 mb 0 tt1 9 r 0
v_accvgpr_read_b32 v8, acc48                       // glvw 7 mb 0 tt1 9 r 0
s_nop 1                                            // v_accvgpr read vgpr after write vgpr: 2 wait states
ds_bpermute_b32 v8, v0, v8, offset:4               // permute edge values
s_waitcnt 0                                        // wait for swizzle operation
v_accvgpr_write_b32 acc48, v5                      // 
v_accvgpr_write_b32 acc52, v6                      // 
v_accvgpr_write_b32 acc56, v7                      // 
v_accvgpr_write_b32 acc60, v8                      // 
v_accvgpr_read_b32 v5, acc37                       // glvw 7 mb 0 tt1 10 r 0
v_accvgpr_read_b32 v6, acc41                       // glvw 7 mb 0 tt1 10 r 0
v_accvgpr_read_b32 v7, acc45                       // glvw 7 mb 0 tt1 10 r 0
v_accvgpr_read_b32 v8, acc33                       // glvw 7 mb 0 tt1 10 r 0
s_nop 1                                            // v_accvgpr read vgpr after write vgpr: 2 wait states
ds_bpermute_b32 v8, v0, v8, offset:4               // permute edge values
s_waitcnt 0                                        // wait for swizzle operation
v_accvgpr_write_b32 acc33, v5                      // 
v_accvgpr_write_b32 acc37, v6                      // 
v_accvgpr_write_b32 acc41, v7                      // 
v_accvgpr_write_b32 acc45, v8                      // 
v_accvgpr_read_b32 v5, acc53                       // glvw 7 mb 0 tt1 11 r 0
v_accvgpr_read_b32 v6, acc57                       // glvw 7 mb 0 tt1 11 r 0
v_accvgpr_read_b32 v7, acc61                       // glvw 7 mb 0 tt1 11 r 0
v_accvgpr_read_b32 v8, acc49                       // glvw 7 mb 0 tt1 11 r 0
s_nop 1                                            // v_accvgpr read vgpr after write vgpr: 2 wait states
ds_bpermute_b32 v8, v0, v8, offset:4               // permute edge values
s_waitcnt 0                                        // wait for swizzle operation
v_accvgpr_write_b32 acc49, v5                      // 
v_accvgpr_write_b32 acc53, v6                      // 
v_accvgpr_write_b32 acc57, v7                      // 
v_accvgpr_write_b32 acc61, v8                      // 
v_accvgpr_read_b32 v5, acc38                       // glvw 7 mb 0 tt1 12 r 0
v_accvgpr_read_b32 v6, acc42                       // glvw 7 mb 0 tt1 12 r 0
v_accvgpr_read_b32 v7, acc46                       // glvw 7 mb 0 tt1 12 r 0
v_accvgpr_read_b32 v8, acc34                       // glvw 7 mb 0 tt1 12 r 0
s_nop 1                                            // v_accvgpr read vgpr after write vgpr: 2 wait states
ds_bpermute_b32 v8, v0, v8, offset:4               // permute edge values
s_waitcnt 0                                        // wait for swizzle operation
v_accvgpr_write_b32 acc34, v5                      // 
v_accvgpr_write_b32 acc38, v6                      // 
v_accvgpr_write_b32 acc42, v7                      // 
v_accvgpr_write_b32 acc46, v8                      // 
v_accvgpr_read_b32 v5, acc54                       // glvw 7 mb 0 tt1 13 r 0
v_accvgpr_read_b32 v6, acc58                       // glvw 7 mb 0 tt1 13 r 0
v_accvgpr_read_b32 v7, acc62                       // glvw 7 mb 0 tt1 13 r 0
v_accvgpr_read_b32 v8, acc50                       // glvw 7 mb 0 tt1 13 r 0
s_nop 1                                            // v_accvgpr read vgpr after write vgpr: 2 wait states
ds_bpermute_b32 v8, v0, v8, offset:4               // permute edge values
s_waitcnt 0                                        // wait for swizzle operation
v_accvgpr_write_b32 acc50, v5                      // 
v_accvgpr_write_b32 acc54, v6                      // 
v_accvgpr_write_b32 acc58, v7                      // 
v_accvgpr_write_b32 acc62, v8                      // 
v_accvgpr_read_b32 v5, acc39                       // glvw 7 mb 0 tt1 14 r 0
v_accvgpr_read_b32 v6, acc43                       // glvw 7 mb 0 tt1 14 r 0
v_accvgpr_read_b32 v7, acc47                       // glvw 7 mb 0 tt1 14 r 0
v_accvgpr_read_b32 v8, acc35                       // glvw 7 mb 0 tt1 14 r 0
s_nop 1                                            // v_accvgpr read vgpr after write vgpr: 2 wait states
ds_bpermute_b32 v8, v0, v8, offset:4               // permute edge values
s_waitcnt 0                                        // wait for swizzle operation
v_accvgpr_write_b32 acc35, v5                      // 
v_accvgpr_write_b32 acc39, v6                      // 
v_accvgpr_write_b32 acc43, v7                      // 
v_accvgpr_write_b32 acc47, v8                      // 
v_accvgpr_read_b32 v5, acc55                       // glvw 7 mb 0 tt1 15 r 0
v_accvgpr_read_b32 v6, acc59                       // glvw 7 mb 0 tt1 15 r 0
v_accvgpr_read_b32 v7, acc63                       // glvw 7 mb 0 tt1 15 r 0
v_accvgpr_read_b32 v8, acc51                       // glvw 7 mb 0 tt1 15 r 0
s_nop 1                                            // v_accvgpr read vgpr after write vgpr: 2 wait states
ds_bpermute_b32 v8, v0, v8, offset:4               // permute edge values
s_waitcnt 0                                        // wait for swizzle operation
v_accvgpr_write_b32 acc51, v5                      // 
v_accvgpr_write_b32 acc55, v6                      // 
v_accvgpr_write_b32 acc59, v7                      // 
v_accvgpr_write_b32 acc63, v8                      // 
s_mov_b64 s[54:55], 0xFFFFFFFFFFFFFFFF             // to restore all threads active
s_or_saveexec_b64 vcc, s[54:55]                    // all threads active
s_branch label_0052                                // done shifting

label_0052: // end shift0


/* shift vector components d1 */

v_mov_b32 v1, s[sgprWorkGroup1]                    // 
v_mul_i32_i24 v1, -0x80, v1                        // wg*MT
_v_add_co_u32 v1, vcc, s[sgprSizesFree+1], v1      // wgMT = Size - wg*MT
v_mov_b32 v2, 0x80                                 // MT
v_min_u32 v1, v2, v1                               // wgMT = (wgMT < MT) ? wgMT : MT
v_lshrrev_b32 v0, 7, v[vgprSerial]                 // v0 = v[vgprSerial] / 128
v_and_b32 v3, 1, v0                                // v3 = v0 % 2
v_lshrrev_b32 v0, 5, v1                            // v0 = v1 / 32
v_and_b32 v4, 1, v0                                // v4 = v0 % 2
v_cmp_eq_u32 s[54:55], v4, v3                      // wave_id == block_belong_to_wave?
v_cndmask_b32 v1, v2, v1, s[54:55]                 // wgMT = (wgMT < MT) ? wgMT : MT

/* mbReg: which mb block need to shift, mb(matrixInstCoal(16) * VectorWidth(2)) */
v_lshrrev_b32 v2, 5, v1                            // v2 = v1 / 32
v_lshlrev_b32 v4, 0x0, v3                          // v4 = v3 * 1
_v_sub_u32 v2, v2, v4                              // 

/* gbReg: glvw block id */
v_lshrrev_b32 v4, 3, v1                            // v4 = v1 / 8

/* tgbReg: glvw block id */
v_lshrrev_b32 v0, 4, v[vgprSerial]                 // v0 = v[vgprSerial] / 16
v_and_b32 v5, 3, v0                                // v5 = v0 % 4
v_lshlrev_b32 v5, 0x3, v5                          // v5 = v5 * 8
v_lshrrev_b32 v5, 3, v5                            // v5 = v5 / 8
v_lshlrev_b32 v3, 0x2, v3                          // v3 = v3 * 4
_v_add_co_u32 v5, vcc, v3, v5                      // tgbReg = (tid_coal * continOut) / GLVW
_v_sub_u32 v4, v4, v5                              // 

/* vwReg: glvw in which vw block? */
v_and_b32 v3, 7, v1                                // permute register between threads
v_lshrrev_b32 v3, 3, v3                            // permute register between threads

/* rReg : reminder of M_size % GlobalLoadVectorWidth */
v_and_b32 v5, 7, v1                                // v5 = v1 % 8
v_cmp_eq_u32 vcc, v5, 0x1                          // wgMT%VW == 1
s_cbranch_vccnz label_0055                         // branch to shift d1 r=1
v_cmp_eq_u32 vcc, v5, 0x2                          // wgMT%VW == 2
s_cbranch_vccnz label_0060                         // branch to shift d1 r=2
v_cmp_eq_u32 vcc, v5, 0x3                          // wgMT%VW == 3
s_cbranch_vccnz label_0065                         // branch to shift d1 r=3
v_cmp_eq_u32 vcc, v5, 0x4                          // wgMT%VW == 4
s_cbranch_vccnz label_0070                         // branch to shift d1 r=4
v_cmp_eq_u32 vcc, v5, 0x5                          // wgMT%VW == 5
s_cbranch_vccnz label_0075                         // branch to shift d1 r=5
v_cmp_eq_u32 vcc, v5, 0x6                          // wgMT%VW == 6
s_cbranch_vccnz label_0080                         // branch to shift d1 r=6
v_cmp_eq_u32 vcc, v5, 0x7                          // wgMT%VW == 7
s_cbranch_vccnz label_0085                         // branch to shift d1 r=7
s_branch label_0090                                // no shifting

/******************************************/
/* shift d1 r=1                           */
/******************************************/
label_0055:
v_cmp_eq_u32 vcc, v2, 0x0                          // 
s_cbranch_vccnz label_0056                         // branch to shift d1 r1 mb0
v_cmp_eq_u32 vcc, v2, 0x2                          // 
s_cbranch_vccnz label_0058                         // branch to shift d1 r1 mb1

/******************************************/
/* shift d1 r=2                           */
/******************************************/
label_0060:
v_cmp_eq_u32 vcc, v2, 0x0                          // 
s_cbranch_vccnz label_0061                         // branch to shift d1 r2 mb0
v_cmp_eq_u32 vcc, v2, 0x2                          // 
s_cbranch_vccnz label_0063                         // branch to shift d1 r2 mb1

/******************************************/
/* shift d1 r=3                           */
/******************************************/
label_0065:
v_cmp_eq_u32 vcc, v2, 0x0                          // 
s_cbranch_vccnz label_0066                         // branch to shift d1 r3 mb0
v_cmp_eq_u32 vcc, v2, 0x2                          // 
s_cbranch_vccnz label_0068                         // branch to shift d1 r3 mb1

/******************************************/
/* shift d1 r=4                           */
/******************************************/
label_0070:
v_cmp_eq_u32 vcc, v2, 0x0                          // 
s_cbranch_vccnz label_0071                         // branch to shift d1 r4 mb0
v_cmp_eq_u32 vcc, v2, 0x2                          // 
s_cbranch_vccnz label_0073                         // branch to shift d1 r4 mb1

/******************************************/
/* shift d1 r=5                           */
/******************************************/
label_0075:
v_cmp_eq_u32 vcc, v2, 0x0                          // 
s_cbranch_vccnz label_0076                         // branch to shift d1 r5 mb0
v_cmp_eq_u32 vcc, v2, 0x2                          // 
s_cbranch_vccnz label_0078                         // branch to shift d1 r5 mb1

/******************************************/
/* shift d1 r=6                           */
/******************************************/
label_0080:
v_cmp_eq_u32 vcc, v2, 0x0                          // 
s_cbranch_vccnz label_0081                         // branch to shift d1 r6 mb0
v_cmp_eq_u32 vcc, v2, 0x2                          // 
s_cbranch_vccnz label_0083                         // branch to shift d1 r6 mb1

/******************************************/
/* shift d1 r=7                           */
/******************************************/
label_0085:
v_cmp_eq_u32 vcc, v2, 0x0                          // 
s_cbranch_vccnz label_0086                         // branch to shift d1 r7 mb0
v_cmp_eq_u32 vcc, v2, 0x2                          // 
s_cbranch_vccnz label_0088                         // branch to shift d1 r7 mb1

/******************************************/
/* shift d1 r=1 mb=0                      */
/******************************************/
label_0056: // r1 mb0 
v_cmp_eq_u32 vcc, v3, 0x0                          // 
s_cbranch_vccnz label_0057                         // branch to shift d1 r1 mb0 vw0

/******************************************/
/* shift d1 r=1 mb=1                      */
/******************************************/
label_0058: // r1 mb1 
v_cmp_eq_u32 vcc, v3, 0x0                          // 
s_cbranch_vccnz label_0059                         // branch to shift d1 r1 mb1 vw0

/******************************************/
/* shift d1 r=2 mb=0                      */
/******************************************/
label_0061: // r2 mb0 
v_cmp_eq_u32 vcc, v3, 0x0                          // 
s_cbranch_vccnz label_0062                         // branch to shift d1 r2 mb0 vw0

/******************************************/
/* shift d1 r=2 mb=1                      */
/******************************************/
label_0063: // r2 mb1 
v_cmp_eq_u32 vcc, v3, 0x0                          // 
s_cbranch_vccnz label_0064                         // branch to shift d1 r2 mb1 vw0

/******************************************/
/* shift d1 r=3 mb=0                      */
/******************************************/
label_0066: // r3 mb0 
v_cmp_eq_u32 vcc, v3, 0x0                          // 
s_cbranch_vccnz label_0067                         // branch to shift d1 r3 mb0 vw0

/******************************************/
/* shift d1 r=3 mb=1                      */
/******************************************/
label_0068: // r3 mb1 
v_cmp_eq_u32 vcc, v3, 0x0                          // 
s_cbranch_vccnz label_0069                         // branch to shift d1 r3 mb1 vw0

/******************************************/
/* shift d1 r=4 mb=0                      */
/******************************************/
label_0071: // r4 mb0 
v_cmp_eq_u32 vcc, v3, 0x0                          // 
s_cbranch_vccnz label_0072                         // branch to shift d1 r4 mb0 vw0

/******************************************/
/* shift d1 r=4 mb=1                      */
/******************************************/
label_0073: // r4 mb1 
v_cmp_eq_u32 vcc, v3, 0x0                          // 
s_cbranch_vccnz label_0074                         // branch to shift d1 r4 mb1 vw0

/******************************************/
/* shift d1 r=5 mb=0                      */
/******************************************/
label_0076: // r5 mb0 
v_cmp_eq_u32 vcc, v3, 0x0                          // 
s_cbranch_vccnz label_0077                         // branch to shift d1 r5 mb0 vw0

/******************************************/
/* shift d1 r=5 mb=1                      */
/******************************************/
label_0078: // r5 mb1 
v_cmp_eq_u32 vcc, v3, 0x0                          // 
s_cbranch_vccnz label_0079                         // branch to shift d1 r5 mb1 vw0

/******************************************/
/* shift d1 r=6 mb=0                      */
/******************************************/
label_0081: // r6 mb0 
v_cmp_eq_u32 vcc, v3, 0x0                          // 
s_cbranch_vccnz label_0082                         // branch to shift d1 r6 mb0 vw0

/******************************************/
/* shift d1 r=6 mb=1                      */
/******************************************/
label_0083: // r6 mb1 
v_cmp_eq_u32 vcc, v3, 0x0                          // 
s_cbranch_vccnz label_0084                         // branch to shift d1 r6 mb1 vw0

/******************************************/
/* shift d1 r=7 mb=0                      */
/******************************************/
label_0086: // r7 mb0 
v_cmp_eq_u32 vcc, v3, 0x0                          // 
s_cbranch_vccnz label_0087                         // branch to shift d1 r7 mb0 vw0

/******************************************/
/* shift d1 r=7 mb=1                      */
/******************************************/
label_0088: // r7 mb1 
v_cmp_eq_u32 vcc, v3, 0x0                          // 
s_cbranch_vccnz label_0089                         // branch to shift d1 r7 mb1 vw0

/******************************************/
/* shift d1 r=1 mb=0 vw0                  */
/******************************************/
label_0057: // r1 mb0 vw0 
s_mov_b32 s54, 0                                   // 
_v_cmpx_eq_u32 s[54:55], v4, s54                   // is thread in edge glvw region
v_and_b32 v0, 63, v[vgprSerial]                    // permute register between threads
v_lshlrev_b32 v0, 2, v0                            // permute register between threads
v_accvgpr_read_b32 v5, acc19                       // glvw 1 mb 0 tt1 0 r 0
s_nop 1                                            // v_accvgpr read vgpr after write vgpr: 2 wait states
v_accvgpr_write_b32 acc0, v5                       // 
v_accvgpr_read_b32 v5, acc23                       // glvw 1 mb 0 tt1 1 r 0
s_nop 1                                            // v_accvgpr read vgpr after write vgpr: 2 wait states
v_accvgpr_write_b32 acc4, v5                       // 
v_accvgpr_read_b32 v5, acc27                       // glvw 1 mb 0 tt1 2 r 0
s_nop 1                                            // v_accvgpr read vgpr after write vgpr: 2 wait states
v_accvgpr_write_b32 acc8, v5                       // 
v_accvgpr_read_b32 v5, acc31                       // glvw 1 mb 0 tt1 3 r 0
s_nop 1                                            // v_accvgpr read vgpr after write vgpr: 2 wait states
v_accvgpr_write_b32 acc12, v5                      // 
s_mov_b64 s[54:55], 0xFFFFFFFFFFFFFFFF             // to restore all threads active
s_or_saveexec_b64 vcc, s[54:55]                    // all threads active
s_branch label_0090                                // done shifting


/******************************************/
/* shift d1 r=1 mb=1 vw0                  */
/******************************************/
label_0059: // r1 mb1 vw0 
s_mov_b32 s54, 8                                   // 
_v_cmpx_eq_u32 s[54:55], v4, s54                   // is thread in edge glvw region
v_and_b32 v0, 63, v[vgprSerial]                    // permute register between threads
v_lshlrev_b32 v0, 2, v0                            // permute register between threads
v_accvgpr_read_b32 v5, acc51                       // glvw 1 mb 1 tt1 0 r 0
s_nop 1                                            // v_accvgpr read vgpr after write vgpr: 2 wait states
v_accvgpr_write_b32 acc32, v5                      // 
v_accvgpr_read_b32 v5, acc55                       // glvw 1 mb 1 tt1 1 r 0
s_nop 1                                            // v_accvgpr read vgpr after write vgpr: 2 wait states
v_accvgpr_write_b32 acc36, v5                      // 
v_accvgpr_read_b32 v5, acc59                       // glvw 1 mb 1 tt1 2 r 0
s_nop 1                                            // v_accvgpr read vgpr after write vgpr: 2 wait states
v_accvgpr_write_b32 acc40, v5                      // 
v_accvgpr_read_b32 v5, acc63                       // glvw 1 mb 1 tt1 3 r 0
s_nop 1                                            // v_accvgpr read vgpr after write vgpr: 2 wait states
v_accvgpr_write_b32 acc44, v5                      // 
s_mov_b64 s[54:55], 0xFFFFFFFFFFFFFFFF             // to restore all threads active
s_or_saveexec_b64 vcc, s[54:55]                    // all threads active
s_branch label_0090                                // done shifting


/******************************************/
/* shift d1 r=2 mb=0 vw0                  */
/******************************************/
label_0062: // r2 mb0 vw0 
s_mov_b32 s54, 0                                   // 
_v_cmpx_eq_u32 s[54:55], v4, s54                   // is thread in edge glvw region
v_and_b32 v0, 63, v[vgprSerial]                    // permute register between threads
v_lshlrev_b32 v0, 2, v0                            // permute register between threads
v_accvgpr_read_b32 v5, acc3                        // glvw 2 mb 0 tt1 0 r 0
v_accvgpr_read_b32 v6, acc19                       // glvw 2 mb 0 tt1 0 r 0
s_nop 1                                            // v_accvgpr read vgpr after write vgpr: 2 wait states
v_accvgpr_write_b32 acc0, v5                       // 
v_accvgpr_write_b32 acc16, v6                      // 
v_accvgpr_read_b32 v5, acc7                        // glvw 2 mb 0 tt1 1 r 0
v_accvgpr_read_b32 v6, acc23                       // glvw 2 mb 0 tt1 1 r 0
s_nop 1                                            // v_accvgpr read vgpr after write vgpr: 2 wait states
v_accvgpr_write_b32 acc4, v5                       // 
v_accvgpr_write_b32 acc20, v6                      // 
v_accvgpr_read_b32 v5, acc11                       // glvw 2 mb 0 tt1 2 r 0
v_accvgpr_read_b32 v6, acc27                       // glvw 2 mb 0 tt1 2 r 0
s_nop 1                                            // v_accvgpr read vgpr after write vgpr: 2 wait states
v_accvgpr_write_b32 acc8, v5                       // 
v_accvgpr_write_b32 acc24, v6                      // 
v_accvgpr_read_b32 v5, acc15                       // glvw 2 mb 0 tt1 3 r 0
v_accvgpr_read_b32 v6, acc31                       // glvw 2 mb 0 tt1 3 r 0
s_nop 1                                            // v_accvgpr read vgpr after write vgpr: 2 wait states
v_accvgpr_write_b32 acc12, v5                      // 
v_accvgpr_write_b32 acc28, v6                      // 
s_mov_b64 s[54:55], 0xFFFFFFFFFFFFFFFF             // to restore all threads active
s_or_saveexec_b64 vcc, s[54:55]                    // all threads active
s_branch label_0090                                // done shifting


/******************************************/
/* shift d1 r=2 mb=1 vw0                  */
/******************************************/
label_0064: // r2 mb1 vw0 
s_mov_b32 s54, 8                                   // 
_v_cmpx_eq_u32 s[54:55], v4, s54                   // is thread in edge glvw region
v_and_b32 v0, 63, v[vgprSerial]                    // permute register between threads
v_lshlrev_b32 v0, 2, v0                            // permute register between threads
v_accvgpr_read_b32 v5, acc35                       // glvw 2 mb 1 tt1 0 r 0
v_accvgpr_read_b32 v6, acc51                       // glvw 2 mb 1 tt1 0 r 0
s_nop 1                                            // v_accvgpr read vgpr after write vgpr: 2 wait states
v_accvgpr_write_b32 acc32, v5                      // 
v_accvgpr_write_b32 acc48, v6                      // 
v_accvgpr_read_b32 v5, acc39                       // glvw 2 mb 1 tt1 1 r 0
v_accvgpr_read_b32 v6, acc55                       // glvw 2 mb 1 tt1 1 r 0
s_nop 1                                            // v_accvgpr read vgpr after write vgpr: 2 wait states
v_accvgpr_write_b32 acc36, v5                      // 
v_accvgpr_write_b32 acc52, v6                      // 
v_accvgpr_read_b32 v5, acc43                       // glvw 2 mb 1 tt1 2 r 0
v_accvgpr_read_b32 v6, acc59                       // glvw 2 mb 1 tt1 2 r 0
s_nop 1                                            // v_accvgpr read vgpr after write vgpr: 2 wait states
v_accvgpr_write_b32 acc40, v5                      // 
v_accvgpr_write_b32 acc56, v6                      // 
v_accvgpr_read_b32 v5, acc47                       // glvw 2 mb 1 tt1 3 r 0
v_accvgpr_read_b32 v6, acc63                       // glvw 2 mb 1 tt1 3 r 0
s_nop 1                                            // v_accvgpr read vgpr after write vgpr: 2 wait states
v_accvgpr_write_b32 acc44, v5                      // 
v_accvgpr_write_b32 acc60, v6                      // 
s_mov_b64 s[54:55], 0xFFFFFFFFFFFFFFFF             // to restore all threads active
s_or_saveexec_b64 vcc, s[54:55]                    // all threads active
s_branch label_0090                                // done shifting


/******************************************/
/* shift d1 r=3 mb=0 vw0                  */
/******************************************/
label_0067: // r3 mb0 vw0 
s_mov_b32 s54, 0                                   // 
_v_cmpx_eq_u32 s[54:55], v4, s54                   // is thread in edge glvw region
v_and_b32 v0, 63, v[vgprSerial]                    // permute register between threads
v_lshlrev_b32 v0, 2, v0                            // permute register between threads
v_accvgpr_read_b32 v5, acc18                       // glvw 3 mb 0 tt1 0 r 0
v_accvgpr_read_b32 v6, acc3                        // glvw 3 mb 0 tt1 0 r 0
v_accvgpr_read_b32 v7, acc19                       // glvw 3 mb 0 tt1 0 r 0
s_nop 1                                            // v_accvgpr read vgpr after write vgpr: 2 wait states
v_accvgpr_write_b32 acc0, v5                       // 
v_accvgpr_write_b32 acc16, v6                      // 
v_accvgpr_write_b32 acc1, v7                       // 
v_accvgpr_read_b32 v5, acc22                       // glvw 3 mb 0 tt1 1 r 0
v_accvgpr_read_b32 v6, acc7                        // glvw 3 mb 0 tt1 1 r 0
v_accvgpr_read_b32 v7, acc23                       // glvw 3 mb 0 tt1 1 r 0
s_nop 1                                            // v_accvgpr read vgpr after write vgpr: 2 wait states
v_accvgpr_write_b32 acc4, v5                       // 
v_accvgpr_write_b32 acc20, v6                      // 
v_accvgpr_write_b32 acc5, v7                       // 
v_accvgpr_read_b32 v5, acc26                       // glvw 3 mb 0 tt1 2 r 0
v_accvgpr_read_b32 v6, acc11                       // glvw 3 mb 0 tt1 2 r 0
v_accvgpr_read_b32 v7, acc27                       // glvw 3 mb 0 tt1 2 r 0
s_nop 1                                            // v_accvgpr read vgpr after write vgpr: 2 wait states
v_accvgpr_write_b32 acc8, v5                       // 
v_accvgpr_write_b32 acc24, v6                      // 
v_accvgpr_write_b32 acc9, v7                       // 
v_accvgpr_read_b32 v5, acc30                       // glvw 3 mb 0 tt1 3 r 0
v_accvgpr_read_b32 v6, acc15                       // glvw 3 mb 0 tt1 3 r 0
v_accvgpr_read_b32 v7, acc31                       // glvw 3 mb 0 tt1 3 r 0
s_nop 1                                            // v_accvgpr read vgpr after write vgpr: 2 wait states
v_accvgpr_write_b32 acc12, v5                      // 
v_accvgpr_write_b32 acc28, v6                      // 
v_accvgpr_write_b32 acc13, v7                      // 
s_mov_b64 s[54:55], 0xFFFFFFFFFFFFFFFF             // to restore all threads active
s_or_saveexec_b64 vcc, s[54:55]                    // all threads active
s_branch label_0090                                // done shifting


/******************************************/
/* shift d1 r=3 mb=1 vw0                  */
/******************************************/
label_0069: // r3 mb1 vw0 
s_mov_b32 s54, 8                                   // 
_v_cmpx_eq_u32 s[54:55], v4, s54                   // is thread in edge glvw region
v_and_b32 v0, 63, v[vgprSerial]                    // permute register between threads
v_lshlrev_b32 v0, 2, v0                            // permute register between threads
v_accvgpr_read_b32 v5, acc50                       // glvw 3 mb 1 tt1 0 r 0
v_accvgpr_read_b32 v6, acc35                       // glvw 3 mb 1 tt1 0 r 0
v_accvgpr_read_b32 v7, acc51                       // glvw 3 mb 1 tt1 0 r 0
s_nop 1                                            // v_accvgpr read vgpr after write vgpr: 2 wait states
v_accvgpr_write_b32 acc32, v5                      // 
v_accvgpr_write_b32 acc48, v6                      // 
v_accvgpr_write_b32 acc33, v7                      // 
v_accvgpr_read_b32 v5, acc54                       // glvw 3 mb 1 tt1 1 r 0
v_accvgpr_read_b32 v6, acc39                       // glvw 3 mb 1 tt1 1 r 0
v_accvgpr_read_b32 v7, acc55                       // glvw 3 mb 1 tt1 1 r 0
s_nop 1                                            // v_accvgpr read vgpr after write vgpr: 2 wait states
v_accvgpr_write_b32 acc36, v5                      // 
v_accvgpr_write_b32 acc52, v6                      // 
v_accvgpr_write_b32 acc37, v7                      // 
v_accvgpr_read_b32 v5, acc58                       // glvw 3 mb 1 tt1 2 r 0
v_accvgpr_read_b32 v6, acc43                       // glvw 3 mb 1 tt1 2 r 0
v_accvgpr_read_b32 v7, acc59                       // glvw 3 mb 1 tt1 2 r 0
s_nop 1                                            // v_accvgpr read vgpr after write vgpr: 2 wait states
v_accvgpr_write_b32 acc40, v5                      // 
v_accvgpr_write_b32 acc56, v6                      // 
v_accvgpr_write_b32 acc41, v7                      // 
v_accvgpr_read_b32 v5, acc62                       // glvw 3 mb 1 tt1 3 r 0
v_accvgpr_read_b32 v6, acc47                       // glvw 3 mb 1 tt1 3 r 0
v_accvgpr_read_b32 v7, acc63                       // glvw 3 mb 1 tt1 3 r 0
s_nop 1                                            // v_accvgpr read vgpr after write vgpr: 2 wait states
v_accvgpr_write_b32 acc44, v5                      // 
v_accvgpr_write_b32 acc60, v6                      // 
v_accvgpr_write_b32 acc45, v7                      // 
s_mov_b64 s[54:55], 0xFFFFFFFFFFFFFFFF             // to restore all threads active
s_or_saveexec_b64 vcc, s[54:55]                    // all threads active
s_branch label_0090                                // done shifting


/******************************************/
/* shift d1 r=4 mb=0 vw0                  */
/******************************************/
label_0072: // r4 mb0 vw0 
s_mov_b32 s54, 0                                   // 
_v_cmpx_eq_u32 s[54:55], v4, s54                   // is thread in edge glvw region
v_and_b32 v0, 63, v[vgprSerial]                    // permute register between threads
v_lshlrev_b32 v0, 2, v0                            // permute register between threads
v_accvgpr_read_b32 v5, acc2                        // glvw 4 mb 0 tt1 0 r 0
v_accvgpr_read_b32 v6, acc18                       // glvw 4 mb 0 tt1 0 r 0
v_accvgpr_read_b32 v7, acc3                        // glvw 4 mb 0 tt1 0 r 0
v_accvgpr_read_b32 v8, acc19                       // glvw 4 mb 0 tt1 0 r 0
s_nop 1                                            // v_accvgpr read vgpr after write vgpr: 2 wait states
v_accvgpr_write_b32 acc0, v5                       // 
v_accvgpr_write_b32 acc16, v6                      // 
v_accvgpr_write_b32 acc1, v7                       // 
v_accvgpr_write_b32 acc17, v8                      // 
v_accvgpr_read_b32 v5, acc6                        // glvw 4 mb 0 tt1 1 r 0
v_accvgpr_read_b32 v6, acc22                       // glvw 4 mb 0 tt1 1 r 0
v_accvgpr_read_b32 v7, acc7                        // glvw 4 mb 0 tt1 1 r 0
v_accvgpr_read_b32 v8, acc23                       // glvw 4 mb 0 tt1 1 r 0
s_nop 1                                            // v_accvgpr read vgpr after write vgpr: 2 wait states
v_accvgpr_write_b32 acc4, v5                       // 
v_accvgpr_write_b32 acc20, v6                      // 
v_accvgpr_write_b32 acc5, v7                       // 
v_accvgpr_write_b32 acc21, v8                      // 
v_accvgpr_read_b32 v5, acc10                       // glvw 4 mb 0 tt1 2 r 0
v_accvgpr_read_b32 v6, acc26                       // glvw 4 mb 0 tt1 2 r 0
v_accvgpr_read_b32 v7, acc11                       // glvw 4 mb 0 tt1 2 r 0
v_accvgpr_read_b32 v8, acc27                       // glvw 4 mb 0 tt1 2 r 0
s_nop 1                                            // v_accvgpr read vgpr after write vgpr: 2 wait states
v_accvgpr_write_b32 acc8, v5                       // 
v_accvgpr_write_b32 acc24, v6                      // 
v_accvgpr_write_b32 acc9, v7                       // 
v_accvgpr_write_b32 acc25, v8                      // 
v_accvgpr_read_b32 v5, acc14                       // glvw 4 mb 0 tt1 3 r 0
v_accvgpr_read_b32 v6, acc30                       // glvw 4 mb 0 tt1 3 r 0
v_accvgpr_read_b32 v7, acc15                       // glvw 4 mb 0 tt1 3 r 0
v_accvgpr_read_b32 v8, acc31                       // glvw 4 mb 0 tt1 3 r 0
s_nop 1                                            // v_accvgpr read vgpr after write vgpr: 2 wait states
v_accvgpr_write_b32 acc12, v5                      // 
v_accvgpr_write_b32 acc28, v6                      // 
v_accvgpr_write_b32 acc13, v7                      // 
v_accvgpr_write_b32 acc29, v8                      // 
s_mov_b64 s[54:55], 0xFFFFFFFFFFFFFFFF             // to restore all threads active
s_or_saveexec_b64 vcc, s[54:55]                    // all threads active
s_branch label_0090                                // done shifting


/******************************************/
/* shift d1 r=4 mb=1 vw0                  */
/******************************************/
label_0074: // r4 mb1 vw0 
s_mov_b32 s54, 8                                   // 
_v_cmpx_eq_u32 s[54:55], v4, s54                   // is thread in edge glvw region
v_and_b32 v0, 63, v[vgprSerial]                    // permute register between threads
v_lshlrev_b32 v0, 2, v0                            // permute register between threads
v_accvgpr_read_b32 v5, acc34                       // glvw 4 mb 1 tt1 0 r 0
v_accvgpr_read_b32 v6, acc50                       // glvw 4 mb 1 tt1 0 r 0
v_accvgpr_read_b32 v7, acc35                       // glvw 4 mb 1 tt1 0 r 0
v_accvgpr_read_b32 v8, acc51                       // glvw 4 mb 1 tt1 0 r 0
s_nop 1                                            // v_accvgpr read vgpr after write vgpr: 2 wait states
v_accvgpr_write_b32 acc32, v5                      // 
v_accvgpr_write_b32 acc48, v6                      // 
v_accvgpr_write_b32 acc33, v7                      // 
v_accvgpr_write_b32 acc49, v8                      // 
v_accvgpr_read_b32 v5, acc38                       // glvw 4 mb 1 tt1 1 r 0
v_accvgpr_read_b32 v6, acc54                       // glvw 4 mb 1 tt1 1 r 0
v_accvgpr_read_b32 v7, acc39                       // glvw 4 mb 1 tt1 1 r 0
v_accvgpr_read_b32 v8, acc55                       // glvw 4 mb 1 tt1 1 r 0
s_nop 1                                            // v_accvgpr read vgpr after write vgpr: 2 wait states
v_accvgpr_write_b32 acc36, v5                      // 
v_accvgpr_write_b32 acc52, v6                      // 
v_accvgpr_write_b32 acc37, v7                      // 
v_accvgpr_write_b32 acc53, v8                      // 
v_accvgpr_read_b32 v5, acc42                       // glvw 4 mb 1 tt1 2 r 0
v_accvgpr_read_b32 v6, acc58                       // glvw 4 mb 1 tt1 2 r 0
v_accvgpr_read_b32 v7, acc43                       // glvw 4 mb 1 tt1 2 r 0
v_accvgpr_read_b32 v8, acc59                       // glvw 4 mb 1 tt1 2 r 0
s_nop 1                                            // v_accvgpr read vgpr after write vgpr: 2 wait states
v_accvgpr_write_b32 acc40, v5                      // 
v_accvgpr_write_b32 acc56, v6                      // 
v_accvgpr_write_b32 acc41, v7                      // 
v_accvgpr_write_b32 acc57, v8                      // 
v_accvgpr_read_b32 v5, acc46                       // glvw 4 mb 1 tt1 3 r 0
v_accvgpr_read_b32 v6, acc62                       // glvw 4 mb 1 tt1 3 r 0
v_accvgpr_read_b32 v7, acc47                       // glvw 4 mb 1 tt1 3 r 0
v_accvgpr_read_b32 v8, acc63                       // glvw 4 mb 1 tt1 3 r 0
s_nop 1                                            // v_accvgpr read vgpr after write vgpr: 2 wait states
v_accvgpr_write_b32 acc44, v5                      // 
v_accvgpr_write_b32 acc60, v6                      // 
v_accvgpr_write_b32 acc45, v7                      // 
v_accvgpr_write_b32 acc61, v8                      // 
s_mov_b64 s[54:55], 0xFFFFFFFFFFFFFFFF             // to restore all threads active
s_or_saveexec_b64 vcc, s[54:55]                    // all threads active
s_branch label_0090                                // done shifting


/******************************************/
/* shift d1 r=5 mb=0 vw0                  */
/******************************************/
label_0077: // r5 mb0 vw0 
s_mov_b32 s54, 0                                   // 
_v_cmpx_eq_u32 s[54:55], v4, s54                   // is thread in edge glvw region
v_and_b32 v0, 63, v[vgprSerial]                    // permute register between threads
v_lshlrev_b32 v0, 2, v0                            // permute register between threads
v_accvgpr_read_b32 v5, acc17                       // glvw 5 mb 0 tt1 0 r 0
v_accvgpr_read_b32 v6, acc2                        // glvw 5 mb 0 tt1 0 r 0
v_accvgpr_read_b32 v7, acc18                       // glvw 5 mb 0 tt1 0 r 0
v_accvgpr_read_b32 v8, acc3                        // glvw 5 mb 0 tt1 0 r 0
v_accvgpr_read_b32 v9, acc19                       // glvw 5 mb 0 tt1 0 r 0
s_nop 1                                            // v_accvgpr read vgpr after write vgpr: 2 wait states
v_accvgpr_write_b32 acc0, v5                       // 
v_accvgpr_write_b32 acc16, v6                      // 
v_accvgpr_write_b32 acc1, v7                       // 
v_accvgpr_write_b32 acc17, v8                      // 
v_accvgpr_write_b32 acc2, v9                       // 
v_accvgpr_read_b32 v5, acc21                       // glvw 5 mb 0 tt1 1 r 0
v_accvgpr_read_b32 v6, acc6                        // glvw 5 mb 0 tt1 1 r 0
v_accvgpr_read_b32 v7, acc22                       // glvw 5 mb 0 tt1 1 r 0
v_accvgpr_read_b32 v8, acc7                        // glvw 5 mb 0 tt1 1 r 0
v_accvgpr_read_b32 v9, acc23                       // glvw 5 mb 0 tt1 1 r 0
s_nop 1                                            // v_accvgpr read vgpr after write vgpr: 2 wait states
v_accvgpr_write_b32 acc4, v5                       // 
v_accvgpr_write_b32 acc20, v6                      // 
v_accvgpr_write_b32 acc5, v7                       // 
v_accvgpr_write_b32 acc21, v8                      // 
v_accvgpr_write_b32 acc6, v9                       // 
v_accvgpr_read_b32 v5, acc25                       // glvw 5 mb 0 tt1 2 r 0
v_accvgpr_read_b32 v6, acc10                       // glvw 5 mb 0 tt1 2 r 0
v_accvgpr_read_b32 v7, acc26                       // glvw 5 mb 0 tt1 2 r 0
v_accvgpr_read_b32 v8, acc11                       // glvw 5 mb 0 tt1 2 r 0
v_accvgpr_read_b32 v9, acc27                       // glvw 5 mb 0 tt1 2 r 0
s_nop 1                                            // v_accvgpr read vgpr after write vgpr: 2 wait states
v_accvgpr_write_b32 acc8, v5                       // 
v_accvgpr_write_b32 acc24, v6                      // 
v_accvgpr_write_b32 acc9, v7                       // 
v_accvgpr_write_b32 acc25, v8                      // 
v_accvgpr_write_b32 acc10, v9                      // 
v_accvgpr_read_b32 v5, acc29                       // glvw 5 mb 0 tt1 3 r 0
v_accvgpr_read_b32 v6, acc14                       // glvw 5 mb 0 tt1 3 r 0
v_accvgpr_read_b32 v7, acc30                       // glvw 5 mb 0 tt1 3 r 0
v_accvgpr_read_b32 v8, acc15                       // glvw 5 mb 0 tt1 3 r 0
v_accvgpr_read_b32 v9, acc31                       // glvw 5 mb 0 tt1 3 r 0
s_nop 1                                            // v_accvgpr read vgpr after write vgpr: 2 wait states
v_accvgpr_write_b32 acc12, v5                      // 
v_accvgpr_write_b32 acc28, v6                      // 
v_accvgpr_write_b32 acc13, v7                      // 
v_accvgpr_write_b32 acc29, v8                      // 
v_accvgpr_write_b32 acc14, v9                      // 
s_mov_b64 s[54:55], 0xFFFFFFFFFFFFFFFF             // to restore all threads active
s_or_saveexec_b64 vcc, s[54:55]                    // all threads active
s_branch label_0090                                // done shifting


/******************************************/
/* shift d1 r=5 mb=1 vw0                  */
/******************************************/
label_0079: // r5 mb1 vw0 
s_mov_b32 s54, 8                                   // 
_v_cmpx_eq_u32 s[54:55], v4, s54                   // is thread in edge glvw region
v_and_b32 v0, 63, v[vgprSerial]                    // permute register between threads
v_lshlrev_b32 v0, 2, v0                            // permute register between threads
v_accvgpr_read_b32 v5, acc49                       // glvw 5 mb 1 tt1 0 r 0
v_accvgpr_read_b32 v6, acc34                       // glvw 5 mb 1 tt1 0 r 0
v_accvgpr_read_b32 v7, acc50                       // glvw 5 mb 1 tt1 0 r 0
v_accvgpr_read_b32 v8, acc35                       // glvw 5 mb 1 tt1 0 r 0
v_accvgpr_read_b32 v9, acc51                       // glvw 5 mb 1 tt1 0 r 0
s_nop 1                                            // v_accvgpr read vgpr after write vgpr: 2 wait states
v_accvgpr_write_b32 acc32, v5                      // 
v_accvgpr_write_b32 acc48, v6                      // 
v_accvgpr_write_b32 acc33, v7                      // 
v_accvgpr_write_b32 acc49, v8                      // 
v_accvgpr_write_b32 acc34, v9                      // 
v_accvgpr_read_b32 v5, acc53                       // glvw 5 mb 1 tt1 1 r 0
v_accvgpr_read_b32 v6, acc38                       // glvw 5 mb 1 tt1 1 r 0
v_accvgpr_read_b32 v7, acc54                       // glvw 5 mb 1 tt1 1 r 0
v_accvgpr_read_b32 v8, acc39                       // glvw 5 mb 1 tt1 1 r 0
v_accvgpr_read_b32 v9, acc55                       // glvw 5 mb 1 tt1 1 r 0
s_nop 1                                            // v_accvgpr read vgpr after write vgpr: 2 wait states
v_accvgpr_write_b32 acc36, v5                      // 
v_accvgpr_write_b32 acc52, v6                      // 
v_accvgpr_write_b32 acc37, v7                      // 
v_accvgpr_write_b32 acc53, v8                      // 
v_accvgpr_write_b32 acc38, v9                      // 
v_accvgpr_read_b32 v5, acc57                       // glvw 5 mb 1 tt1 2 r 0
v_accvgpr_read_b32 v6, acc42                       // glvw 5 mb 1 tt1 2 r 0
v_accvgpr_read_b32 v7, acc58                       // glvw 5 mb 1 tt1 2 r 0
v_accvgpr_read_b32 v8, acc43                       // glvw 5 mb 1 tt1 2 r 0
v_accvgpr_read_b32 v9, acc59                       // glvw 5 mb 1 tt1 2 r 0
s_nop 1                                            // v_accvgpr read vgpr after write vgpr: 2 wait states
v_accvgpr_write_b32 acc40, v5                      // 
v_accvgpr_write_b32 acc56, v6                      // 
v_accvgpr_write_b32 acc41, v7                      // 
v_accvgpr_write_b32 acc57, v8                      // 
v_accvgpr_write_b32 acc42, v9                      // 
v_accvgpr_read_b32 v5, acc61                       // glvw 5 mb 1 tt1 3 r 0
v_accvgpr_read_b32 v6, acc46                       // glvw 5 mb 1 tt1 3 r 0
v_accvgpr_read_b32 v7, acc62                       // glvw 5 mb 1 tt1 3 r 0
v_accvgpr_read_b32 v8, acc47                       // glvw 5 mb 1 tt1 3 r 0
v_accvgpr_read_b32 v9, acc63                       // glvw 5 mb 1 tt1 3 r 0
s_nop 1                                            // v_accvgpr read vgpr after write vgpr: 2 wait states
v_accvgpr_write_b32 acc44, v5                      // 
v_accvgpr_write_b32 acc60, v6                      // 
v_accvgpr_write_b32 acc45, v7                      // 
v_accvgpr_write_b32 acc61, v8                      // 
v_accvgpr_write_b32 acc46, v9                      // 
s_mov_b64 s[54:55], 0xFFFFFFFFFFFFFFFF             // to restore all threads active
s_or_saveexec_b64 vcc, s[54:55]                    // all threads active
s_branch label_0090                                // done shifting


/******************************************/
/* shift d1 r=6 mb=0 vw0                  */
/******************************************/
label_0082: // r6 mb0 vw0 
s_mov_b32 s54, 0                                   // 
_v_cmpx_eq_u32 s[54:55], v4, s54                   // is thread in edge glvw region
v_and_b32 v0, 63, v[vgprSerial]                    // permute register between threads
v_lshlrev_b32 v0, 2, v0                            // permute register between threads
v_accvgpr_read_b32 v5, acc1                        // glvw 6 mb 0 tt1 0 r 0
v_accvgpr_read_b32 v6, acc17                       // glvw 6 mb 0 tt1 0 r 0
v_accvgpr_read_b32 v7, acc2                        // glvw 6 mb 0 tt1 0 r 0
v_accvgpr_read_b32 v8, acc18                       // glvw 6 mb 0 tt1 0 r 0
v_accvgpr_read_b32 v9, acc3                        // glvw 6 mb 0 tt1 0 r 0
v_accvgpr_read_b32 v10, acc19                      // glvw 6 mb 0 tt1 0 r 0
s_nop 1                                            // v_accvgpr read vgpr after write vgpr: 2 wait states
v_accvgpr_write_b32 acc0, v5                       // 
v_accvgpr_write_b32 acc16, v6                      // 
v_accvgpr_write_b32 acc1, v7                       // 
v_accvgpr_write_b32 acc17, v8                      // 
v_accvgpr_write_b32 acc2, v9                       // 
v_accvgpr_write_b32 acc18, v10                     // 
v_accvgpr_read_b32 v5, acc5                        // glvw 6 mb 0 tt1 1 r 0
v_accvgpr_read_b32 v6, acc21                       // glvw 6 mb 0 tt1 1 r 0
v_accvgpr_read_b32 v7, acc6                        // glvw 6 mb 0 tt1 1 r 0
v_accvgpr_read_b32 v8, acc22                       // glvw 6 mb 0 tt1 1 r 0
v_accvgpr_read_b32 v9, acc7                        // glvw 6 mb 0 tt1 1 r 0
v_accvgpr_read_b32 v10, acc23                      // glvw 6 mb 0 tt1 1 r 0
s_nop 1                                            // v_accvgpr read vgpr after write vgpr: 2 wait states
v_accvgpr_write_b32 acc4, v5                       // 
v_accvgpr_write_b32 acc20, v6                      // 
v_accvgpr_write_b32 acc5, v7                       // 
v_accvgpr_write_b32 acc21, v8                      // 
v_accvgpr_write_b32 acc6, v9                       // 
v_accvgpr_write_b32 acc22, v10                     // 
v_accvgpr_read_b32 v5, acc9                        // glvw 6 mb 0 tt1 2 r 0
v_accvgpr_read_b32 v6, acc25                       // glvw 6 mb 0 tt1 2 r 0
v_accvgpr_read_b32 v7, acc10                       // glvw 6 mb 0 tt1 2 r 0
v_accvgpr_read_b32 v8, acc26                       // glvw 6 mb 0 tt1 2 r 0
v_accvgpr_read_b32 v9, acc11                       // glvw 6 mb 0 tt1 2 r 0
v_accvgpr_read_b32 v10, acc27                      // glvw 6 mb 0 tt1 2 r 0
s_nop 1                                            // v_accvgpr read vgpr after write vgpr: 2 wait states
v_accvgpr_write_b32 acc8, v5                       // 
v_accvgpr_write_b32 acc24, v6                      // 
v_accvgpr_write_b32 acc9, v7                       // 
v_accvgpr_write_b32 acc25, v8                      // 
v_accvgpr_write_b32 acc10, v9                      // 
v_accvgpr_write_b32 acc26, v10                     // 
v_accvgpr_read_b32 v5, acc13                       // glvw 6 mb 0 tt1 3 r 0
v_accvgpr_read_b32 v6, acc29                       // glvw 6 mb 0 tt1 3 r 0
v_accvgpr_read_b32 v7, acc14                       // glvw 6 mb 0 tt1 3 r 0
v_accvgpr_read_b32 v8, acc30                       // glvw 6 mb 0 tt1 3 r 0
v_accvgpr_read_b32 v9, acc15                       // glvw 6 mb 0 tt1 3 r 0
v_accvgpr_read_b32 v10, acc31                      // glvw 6 mb 0 tt1 3 r 0
s_nop 1                                            // v_accvgpr read vgpr after write vgpr: 2 wait states
v_accvgpr_write_b32 acc12, v5                      // 
v_accvgpr_write_b32 acc28, v6                      // 
v_accvgpr_write_b32 acc13, v7                      // 
v_accvgpr_write_b32 acc29, v8                      // 
v_accvgpr_write_b32 acc14, v9                      // 
v_accvgpr_write_b32 acc30, v10                     // 
s_mov_b64 s[54:55], 0xFFFFFFFFFFFFFFFF             // to restore all threads active
s_or_saveexec_b64 vcc, s[54:55]                    // all threads active
s_branch label_0090                                // done shifting


/******************************************/
/* shift d1 r=6 mb=1 vw0                  */
/******************************************/
label_0084: // r6 mb1 vw0 
s_mov_b32 s54, 8                                   // 
_v_cmpx_eq_u32 s[54:55], v4, s54                   // is thread in edge glvw region
v_and_b32 v0, 63, v[vgprSerial]                    // permute register between threads
v_lshlrev_b32 v0, 2, v0                            // permute register between threads
v_accvgpr_read_b32 v5, acc33                       // glvw 6 mb 1 tt1 0 r 0
v_accvgpr_read_b32 v6, acc49                       // glvw 6 mb 1 tt1 0 r 0
v_accvgpr_read_b32 v7, acc34                       // glvw 6 mb 1 tt1 0 r 0
v_accvgpr_read_b32 v8, acc50                       // glvw 6 mb 1 tt1 0 r 0
v_accvgpr_read_b32 v9, acc35                       // glvw 6 mb 1 tt1 0 r 0
v_accvgpr_read_b32 v10, acc51                      // glvw 6 mb 1 tt1 0 r 0
s_nop 1                                            // v_accvgpr read vgpr after write vgpr: 2 wait states
v_accvgpr_write_b32 acc32, v5                      // 
v_accvgpr_write_b32 acc48, v6                      // 
v_accvgpr_write_b32 acc33, v7                      // 
v_accvgpr_write_b32 acc49, v8                      // 
v_accvgpr_write_b32 acc34, v9                      // 
v_accvgpr_write_b32 acc50, v10                     // 
v_accvgpr_read_b32 v5, acc37                       // glvw 6 mb 1 tt1 1 r 0
v_accvgpr_read_b32 v6, acc53                       // glvw 6 mb 1 tt1 1 r 0
v_accvgpr_read_b32 v7, acc38                       // glvw 6 mb 1 tt1 1 r 0
v_accvgpr_read_b32 v8, acc54                       // glvw 6 mb 1 tt1 1 r 0
v_accvgpr_read_b32 v9, acc39                       // glvw 6 mb 1 tt1 1 r 0
v_accvgpr_read_b32 v10, acc55                      // glvw 6 mb 1 tt1 1 r 0
s_nop 1                                            // v_accvgpr read vgpr after write vgpr: 2 wait states
v_accvgpr_write_b32 acc36, v5                      // 
v_accvgpr_write_b32 acc52, v6                      // 
v_accvgpr_write_b32 acc37, v7                      // 
v_accvgpr_write_b32 acc53, v8                      // 
v_accvgpr_write_b32 acc38, v9                      // 
v_accvgpr_write_b32 acc54, v10                     // 
v_accvgpr_read_b32 v5, acc41                       // glvw 6 mb 1 tt1 2 r 0
v_accvgpr_read_b32 v6, acc57                       // glvw 6 mb 1 tt1 2 r 0
v_accvgpr_read_b32 v7, acc42                       // glvw 6 mb 1 tt1 2 r 0
v_accvgpr_read_b32 v8, acc58                       // glvw 6 mb 1 tt1 2 r 0
v_accvgpr_read_b32 v9, acc43                       // glvw 6 mb 1 tt1 2 r 0
v_accvgpr_read_b32 v10, acc59                      // glvw 6 mb 1 tt1 2 r 0
s_nop 1                                            // v_accvgpr read vgpr after write vgpr: 2 wait states
v_accvgpr_write_b32 acc40, v5                      // 
v_accvgpr_write_b32 acc56, v6                      // 
v_accvgpr_write_b32 acc41, v7                      // 
v_accvgpr_write_b32 acc57, v8                      // 
v_accvgpr_write_b32 acc42, v9                      // 
v_accvgpr_write_b32 acc58, v10                     // 
v_accvgpr_read_b32 v5, acc45                       // glvw 6 mb 1 tt1 3 r 0
v_accvgpr_read_b32 v6, acc61                       // glvw 6 mb 1 tt1 3 r 0
v_accvgpr_read_b32 v7, acc46                       // glvw 6 mb 1 tt1 3 r 0
v_accvgpr_read_b32 v8, acc62                       // glvw 6 mb 1 tt1 3 r 0
v_accvgpr_read_b32 v9, acc47                       // glvw 6 mb 1 tt1 3 r 0
v_accvgpr_read_b32 v10, acc63                      // glvw 6 mb 1 tt1 3 r 0
s_nop 1                                            // v_accvgpr read vgpr after write vgpr: 2 wait states
v_accvgpr_write_b32 acc44, v5                      // 
v_accvgpr_write_b32 acc60, v6                      // 
v_accvgpr_write_b32 acc45, v7                      // 
v_accvgpr_write_b32 acc61, v8                      // 
v_accvgpr_write_b32 acc46, v9                      // 
v_accvgpr_write_b32 acc62, v10                     // 
s_mov_b64 s[54:55], 0xFFFFFFFFFFFFFFFF             // to restore all threads active
s_or_saveexec_b64 vcc, s[54:55]                    // all threads active
s_branch label_0090                                // done shifting


/******************************************/
/* shift d1 r=7 mb=0 vw0                  */
/******************************************/
label_0087: // r7 mb0 vw0 
s_mov_b32 s54, 0                                   // 
_v_cmpx_eq_u32 s[54:55], v4, s54                   // is thread in edge glvw region
v_and_b32 v0, 63, v[vgprSerial]                    // permute register between threads
v_lshlrev_b32 v0, 2, v0                            // permute register between threads
v_accvgpr_read_b32 v5, acc16                       // glvw 7 mb 0 tt1 0 r 0
v_accvgpr_read_b32 v6, acc1                        // glvw 7 mb 0 tt1 0 r 0
v_accvgpr_read_b32 v7, acc17                       // glvw 7 mb 0 tt1 0 r 0
v_accvgpr_read_b32 v8, acc2                        // glvw 7 mb 0 tt1 0 r 0
v_accvgpr_read_b32 v9, acc18                       // glvw 7 mb 0 tt1 0 r 0
v_accvgpr_read_b32 v10, acc3                       // glvw 7 mb 0 tt1 0 r 0
v_accvgpr_read_b32 v11, acc19                      // glvw 7 mb 0 tt1 0 r 0
s_nop 1                                            // v_accvgpr read vgpr after write vgpr: 2 wait states
v_accvgpr_write_b32 acc0, v5                       // 
v_accvgpr_write_b32 acc16, v6                      // 
v_accvgpr_write_b32 acc1, v7                       // 
v_accvgpr_write_b32 acc17, v8                      // 
v_accvgpr_write_b32 acc2, v9                       // 
v_accvgpr_write_b32 acc18, v10                     // 
v_accvgpr_write_b32 acc3, v11                      // 
v_accvgpr_read_b32 v5, acc20                       // glvw 7 mb 0 tt1 1 r 0
v_accvgpr_read_b32 v6, acc5                        // glvw 7 mb 0 tt1 1 r 0
v_accvgpr_read_b32 v7, acc21                       // glvw 7 mb 0 tt1 1 r 0
v_accvgpr_read_b32 v8, acc6                        // glvw 7 mb 0 tt1 1 r 0
v_accvgpr_read_b32 v9, acc22                       // glvw 7 mb 0 tt1 1 r 0
v_accvgpr_read_b32 v10, acc7                       // glvw 7 mb 0 tt1 1 r 0
v_accvgpr_read_b32 v11, acc23                      // glvw 7 mb 0 tt1 1 r 0
s_nop 1                                            // v_accvgpr read vgpr after write vgpr: 2 wait states
v_accvgpr_write_b32 acc4, v5                       // 
v_accvgpr_write_b32 acc20, v6                      // 
v_accvgpr_write_b32 acc5, v7                       // 
v_accvgpr_write_b32 acc21, v8                      // 
v_accvgpr_write_b32 acc6, v9                       // 
v_accvgpr_write_b32 acc22, v10                     // 
v_accvgpr_write_b32 acc7, v11                      // 
v_accvgpr_read_b32 v5, acc24                       // glvw 7 mb 0 tt1 2 r 0
v_accvgpr_read_b32 v6, acc9                        // glvw 7 mb 0 tt1 2 r 0
v_accvgpr_read_b32 v7, acc25                       // glvw 7 mb 0 tt1 2 r 0
v_accvgpr_read_b32 v8, acc10                       // glvw 7 mb 0 tt1 2 r 0
v_accvgpr_read_b32 v9, acc26                       // glvw 7 mb 0 tt1 2 r 0
v_accvgpr_read_b32 v10, acc11                      // glvw 7 mb 0 tt1 2 r 0
v_accvgpr_read_b32 v11, acc27                      // glvw 7 mb 0 tt1 2 r 0
s_nop 1                                            // v_accvgpr read vgpr after write vgpr: 2 wait states
v_accvgpr_write_b32 acc8, v5                       // 
v_accvgpr_write_b32 acc24, v6                      // 
v_accvgpr_write_b32 acc9, v7                       // 
v_accvgpr_write_b32 acc25, v8                      // 
v_accvgpr_write_b32 acc10, v9                      // 
v_accvgpr_write_b32 acc26, v10                     // 
v_accvgpr_write_b32 acc11, v11                     // 
v_accvgpr_read_b32 v5, acc28                       // glvw 7 mb 0 tt1 3 r 0
v_accvgpr_read_b32 v6, acc13                       // glvw 7 mb 0 tt1 3 r 0
v_accvgpr_read_b32 v7, acc29                       // glvw 7 mb 0 tt1 3 r 0
v_accvgpr_read_b32 v8, acc14                       // glvw 7 mb 0 tt1 3 r 0
v_accvgpr_read_b32 v9, acc30                       // glvw 7 mb 0 tt1 3 r 0
v_accvgpr_read_b32 v10, acc15                      // glvw 7 mb 0 tt1 3 r 0
v_accvgpr_read_b32 v11, acc31                      // glvw 7 mb 0 tt1 3 r 0
s_nop 1                                            // v_accvgpr read vgpr after write vgpr: 2 wait states
v_accvgpr_write_b32 acc12, v5                      // 
v_accvgpr_write_b32 acc28, v6                      // 
v_accvgpr_write_b32 acc13, v7                      // 
v_accvgpr_write_b32 acc29, v8                      // 
v_accvgpr_write_b32 acc14, v9                      // 
v_accvgpr_write_b32 acc30, v10                     // 
v_accvgpr_write_b32 acc15, v11                     // 
s_mov_b64 s[54:55], 0xFFFFFFFFFFFFFFFF             // to restore all threads active
s_or_saveexec_b64 vcc, s[54:55]                    // all threads active
s_branch label_0090                                // done shifting


/******************************************/
/* shift d1 r=7 mb=1 vw0                  */
/******************************************/
label_0089: // r7 mb1 vw0 
s_mov_b32 s54, 8                                   // 
_v_cmpx_eq_u32 s[54:55], v4, s54                   // is thread in edge glvw region
v_and_b32 v0, 63, v[vgprSerial]                    // permute register between threads
v_lshlrev_b32 v0, 2, v0                            // permute register between threads
v_accvgpr_read_b32 v5, acc48                       // glvw 7 mb 1 tt1 0 r 0
v_accvgpr_read_b32 v6, acc33                       // glvw 7 mb 1 tt1 0 r 0
v_accvgpr_read_b32 v7, acc49                       // glvw 7 mb 1 tt1 0 r 0
v_accvgpr_read_b32 v8, acc34                       // glvw 7 mb 1 tt1 0 r 0
v_accvgpr_read_b32 v9, acc50                       // glvw 7 mb 1 tt1 0 r 0
v_accvgpr_read_b32 v10, acc35                      // glvw 7 mb 1 tt1 0 r 0
v_accvgpr_read_b32 v11, acc51                      // glvw 7 mb 1 tt1 0 r 0
s_nop 1                                            // v_accvgpr read vgpr after write vgpr: 2 wait states
v_accvgpr_write_b32 acc32, v5                      // 
v_accvgpr_write_b32 acc48, v6                      // 
v_accvgpr_write_b32 acc33, v7                      // 
v_accvgpr_write_b32 acc49, v8                      // 
v_accvgpr_write_b32 acc34, v9                      // 
v_accvgpr_write_b32 acc50, v10                     // 
v_accvgpr_write_b32 acc35, v11                     // 
v_accvgpr_read_b32 v5, acc52                       // glvw 7 mb 1 tt1 1 r 0
v_accvgpr_read_b32 v6, acc37                       // glvw 7 mb 1 tt1 1 r 0
v_accvgpr_read_b32 v7, acc53                       // glvw 7 mb 1 tt1 1 r 0
v_accvgpr_read_b32 v8, acc38                       // glvw 7 mb 1 tt1 1 r 0
v_accvgpr_read_b32 v9, acc54                       // glvw 7 mb 1 tt1 1 r 0
v_accvgpr_read_b32 v10, acc39                      // glvw 7 mb 1 tt1 1 r 0
v_accvgpr_read_b32 v11, acc55                      // glvw 7 mb 1 tt1 1 r 0
s_nop 1                                            // v_accvgpr read vgpr after write vgpr: 2 wait states
v_accvgpr_write_b32 acc36, v5                      // 
v_accvgpr_write_b32 acc52, v6                      // 
v_accvgpr_write_b32 acc37, v7                      // 
v_accvgpr_write_b32 acc53, v8                      // 
v_accvgpr_write_b32 acc38, v9                      // 
v_accvgpr_write_b32 acc54, v10                     // 
v_accvgpr_write_b32 acc39, v11                     // 
v_accvgpr_read_b32 v5, acc56                       // glvw 7 mb 1 tt1 2 r 0
v_accvgpr_read_b32 v6, acc41                       // glvw 7 mb 1 tt1 2 r 0
v_accvgpr_read_b32 v7, acc57                       // glvw 7 mb 1 tt1 2 r 0
v_accvgpr_read_b32 v8, acc42                       // glvw 7 mb 1 tt1 2 r 0
v_accvgpr_read_b32 v9, acc58                       // glvw 7 mb 1 tt1 2 r 0
v_accvgpr_read_b32 v10, acc43                      // glvw 7 mb 1 tt1 2 r 0
v_accvgpr_read_b32 v11, acc59                      // glvw 7 mb 1 tt1 2 r 0
s_nop 1                                            // v_accvgpr read vgpr after write vgpr: 2 wait states
v_accvgpr_write_b32 acc40, v5                      // 
v_accvgpr_write_b32 acc56, v6                      // 
v_accvgpr_write_b32 acc41, v7                      // 
v_accvgpr_write_b32 acc57, v8                      // 
v_accvgpr_write_b32 acc42, v9                      // 
v_accvgpr_write_b32 acc58, v10                     // 
v_accvgpr_write_b32 acc43, v11                     // 
v_accvgpr_read_b32 v5, acc60                       // glvw 7 mb 1 tt1 3 r 0
v_accvgpr_read_b32 v6, acc45                       // glvw 7 mb 1 tt1 3 r 0
v_accvgpr_read_b32 v7, acc61                       // glvw 7 mb 1 tt1 3 r 0
v_accvgpr_read_b32 v8, acc46                       // glvw 7 mb 1 tt1 3 r 0
v_accvgpr_read_b32 v9, acc62                       // glvw 7 mb 1 tt1 3 r 0
v_accvgpr_read_b32 v10, acc47                      // glvw 7 mb 1 tt1 3 r 0
v_accvgpr_read_b32 v11, acc63                      // glvw 7 mb 1 tt1 3 r 0
s_nop 1                                            // v_accvgpr read vgpr after write vgpr: 2 wait states
v_accvgpr_write_b32 acc44, v5                      // 
v_accvgpr_write_b32 acc60, v6                      // 
v_accvgpr_write_b32 acc45, v7                      // 
v_accvgpr_write_b32 acc61, v8                      // 
v_accvgpr_write_b32 acc46, v9                      // 
v_accvgpr_write_b32 acc62, v10                     // 
v_accvgpr_write_b32 acc47, v11                     // 
s_mov_b64 s[54:55], 0xFFFFFFFFFFFFFFFF             // to restore all threads active
s_or_saveexec_b64 vcc, s[54:55]                    // all threads active
s_branch label_0090                                // done shifting

label_0090: // end shift0


	;; [unrolled: 1-line block ×3, first 2 shown]
/* not-LocalSplitU: global write indices */

/* computeStoreVgprs */
v_lshrrev_b32 v4, 6, v[vgprSerial]                 // v4 = v[vgprSerial] / 64
v_and_b32 v1, 63, v[vgprSerial]                    // v1 = v[vgprSerial] % 64
v_lshrrev_b32 v1, 4, v1                            // v1 = v1 / 16
v_lshlrev_b32 v1, 0x2, v1                          // thread0 * continuous_output
v_lshrrev_b32 v5, 1, v4                            // v5 = v4 / 2
v_mul_lo_u32 v5, 0x10, v5                          // wave coordination offset 1
_v_add_lshl_u32 v1, v5, v1, 1                      // coordination 1 = vwb *(wave_id1 + tid1)
v_mul_lo_u32 v2, v1, s[sgprStrideC1J]              //  offset 1
v_mul_lo_u32 v3, v1, s[sgprStrideD1J]              //  offset 1
v_and_b32 v5, 1, v4                                // v5 = v4 % 2
v_mul_lo_u32 v5, 0x10, v5                          // wave coordination offset 0
v_and_b32 v0, 15, v[vgprSerial]                    // v0 = v[vgprSerial] % 16
_v_add_lshl_u32 v0, v5, v0, 2                      // coordination 0 = vwa *(wave_id0 + tid0)
s_mul_i32 s53, 128, s[sgprWorkGroup0]              // wgp0 * MT0
_v_add_u32 v0, s53, v0                             // coord 0 = (tid0/MI_m)*4 + waveG0*MIB_m + MT0*SG0
s_mul_i32 s53, 128, s[sgprWorkGroup1]              // wgp1 * MT1
_v_add_u32 v1, s53, v1                             // coord 1 = (tid0%MI_m) + waveG1*MIB_n + MT1*SG1


/* not-LocalSplitU: global write */

s_cmpk_eq_u32 s[sgprBeta], 0x0                     // Beta == 0
s_cbranch_scc0 GW_Beta_109                         // Branch if Beta is not zero

s_and_b32 s54, 127, s[sgprSizeI]                   // s54 = s[sgprSizeI] % 128
s_add_u32 s55, -0x1, s[sgprNumWorkGroups0]         // 
s_cmp_ge_u32 s[sgprWorkGroup0], s55                // wg0 >= nwg0-1 ?
s_cselect_b32 s54, s54, 0                          // set rMT0
s_cmpk_gt_u32 s54, 0x0                             // rMT0 > 0
s_cbranch_scc1 GW_B0_E1_100                        // jump if edges required
s_and_b32 s54, 127, s[sgprSizeJ]                   // s54 = s[sgprSizeJ] % 128
s_add_u32 s55, -0x1, s[sgprNumWorkGroups1]         // 
s_cmp_ge_u32 s[sgprWorkGroup1], s55                // wg1 >= nwg1-1
s_cselect_b32 s54, s54, 0                          // set rMT1
s_cmpk_gt_u32 s54, 0x0                             // rMT1 > 0
s_cbranch_scc1 GW_B0_E1_100                        // jump if edges required
GW_B0_E0_97:

/* edge=0, allocate 2 sgpr. perBatchTmpS=2 perBatchMaskS=0 perElementMaskS=0 elementsPerBatch=16 */
/* optSingleColVgpr=1 optSharedColVgpr=0 optSGPRUsage=BufferLoad_Mask optSrdIncForRow=1 */
s_sleep 3 // optimization: sync and wait
s_barrier

/******************************************/
/* Global Write Alpha Batch #0 (d1,d0,vc1,vc0) = */
/*    (0,0,0,0:vw4); (0,0,1,0:vw4); (0,0,2,0:vw4); (0,0,3,0:vw4); (0,0,4,0:vw4); (0,0,5,0:vw4); (0,0,6,0:vw4); (0,0,7,0:vw4); (1,0,0,0:vw4); (1,0,1,0:vw4); (1,0,2,0:vw4); (1,0,3,0:vw4); (1,0,4,0:vw4); (1,0,5,0:vw4); (1,0,6,0:vw4); (1,0,7,0:vw4) */
/******************************************/

/* calc coords, apply mask, and issue loads (if necessary) */
/* (d1,vc1,d0,vc0)=(0,0,0,0) */
/* (d1,vc1,d0,vc0)=(0,1,0,0) */
	;; [unrolled: 1-line block ×16, first 2 shown]
_v_add_lshl_u32 v6, v3, v0, 0x1                    // optSingleColVgpr scaleToBpe: sharedAddrVgpr <- cinRowPtr + coord0, scaled by BPE. BSHERE:coord0=0, coord0Vgpr=0
v_accvgpr_read_b32 v[vgprValuC+8], acc0 // copy acc to vreg[0]
v_accvgpr_read_b32 v[vgprValuC+9], acc4 // copy acc to vreg[1]
v_accvgpr_read_b32 v[vgprValuC+10], acc8 // copy acc to vreg[2]
v_accvgpr_read_b32 v[vgprValuC+11], acc12 // copy acc to vreg[3]
v_accvgpr_read_b32 v[vgprValuC+12], acc16 // copy acc to vreg[4]
v_accvgpr_read_b32 v[vgprValuC+13], acc20 // copy acc to vreg[5]
v_accvgpr_read_b32 v[vgprValuC+14], acc24 // copy acc to vreg[6]
v_accvgpr_read_b32 v[vgprValuC+15], acc28 // copy acc to vreg[7]
v_accvgpr_read_b32 v[vgprValuC+16], acc1 // copy acc to vreg[8]
v_accvgpr_read_b32 v[vgprValuC+17], acc5 // copy acc to vreg[9]
v_accvgpr_read_b32 v[vgprValuC+18], acc9 // copy acc to vreg[10]
v_accvgpr_read_b32 v[vgprValuC+19], acc13 // copy acc to vreg[11]
v_accvgpr_read_b32 v[vgprValuC+20], acc17 // copy acc to vreg[12]
v_accvgpr_read_b32 v[vgprValuC+21], acc21 // copy acc to vreg[13]
v_accvgpr_read_b32 v[vgprValuC+22], acc25 // copy acc to vreg[14]
v_accvgpr_read_b32 v[vgprValuC+23], acc29 // copy acc to vreg[15]
v_accvgpr_read_b32 v[vgprValuC+24], acc2 // copy acc to vreg[16]
v_accvgpr_read_b32 v[vgprValuC+25], acc6 // copy acc to vreg[17]
v_accvgpr_read_b32 v[vgprValuC+26], acc10 // copy acc to vreg[18]
v_accvgpr_read_b32 v[vgprValuC+27], acc14 // copy acc to vreg[19]
v_accvgpr_read_b32 v[vgprValuC+28], acc18 // copy acc to vreg[20]
v_accvgpr_read_b32 v[vgprValuC+29], acc22 // copy acc to vreg[21]
v_accvgpr_read_b32 v[vgprValuC+30], acc26 // copy acc to vreg[22]
v_accvgpr_read_b32 v[vgprValuC+31], acc30 // copy acc to vreg[23]
v_accvgpr_read_b32 v[vgprValuC+32], acc3 // copy acc to vreg[24]
v_accvgpr_read_b32 v[vgprValuC+33], acc7 // copy acc to vreg[25]
v_accvgpr_read_b32 v[vgprValuC+34], acc11 // copy acc to vreg[26]
v_accvgpr_read_b32 v[vgprValuC+35], acc15 // copy acc to vreg[27]
v_accvgpr_read_b32 v[vgprValuC+36], acc19 // copy acc to vreg[28]
v_accvgpr_read_b32 v[vgprValuC+37], acc23 // copy acc to vreg[29]
v_accvgpr_read_b32 v[vgprValuC+38], acc27 // copy acc to vreg[30]
v_accvgpr_read_b32 v[vgprValuC+39], acc31 // copy acc to vreg[31]
v_accvgpr_read_b32 v[vgprValuC+40], acc32 // copy acc to vreg[32]
v_accvgpr_read_b32 v[vgprValuC+41], acc36 // copy acc to vreg[33]
v_accvgpr_read_b32 v[vgprValuC+42], acc40 // copy acc to vreg[34]
v_accvgpr_read_b32 v[vgprValuC+43], acc44 // copy acc to vreg[35]
v_accvgpr_read_b32 v[vgprValuC+44], acc48 // copy acc to vreg[36]
v_accvgpr_read_b32 v[vgprValuC+45], acc52 // copy acc to vreg[37]
v_accvgpr_read_b32 v[vgprValuC+46], acc56 // copy acc to vreg[38]
v_accvgpr_read_b32 v[vgprValuC+47], acc60 // copy acc to vreg[39]
v_accvgpr_read_b32 v[vgprValuC+48], acc33 // copy acc to vreg[40]
v_accvgpr_read_b32 v[vgprValuC+49], acc37 // copy acc to vreg[41]
v_accvgpr_read_b32 v[vgprValuC+50], acc41 // copy acc to vreg[42]
v_accvgpr_read_b32 v[vgprValuC+51], acc45 // copy acc to vreg[43]
v_accvgpr_read_b32 v[vgprValuC+52], acc49 // copy acc to vreg[44]
v_accvgpr_read_b32 v[vgprValuC+53], acc53 // copy acc to vreg[45]
v_accvgpr_read_b32 v[vgprValuC+54], acc57 // copy acc to vreg[46]
v_accvgpr_read_b32 v[vgprValuC+55], acc61 // copy acc to vreg[47]
v_accvgpr_read_b32 v[vgprValuC+56], acc34 // copy acc to vreg[48]
v_accvgpr_read_b32 v[vgprValuC+57], acc38 // copy acc to vreg[49]
v_accvgpr_read_b32 v[vgprValuC+58], acc42 // copy acc to vreg[50]
v_accvgpr_read_b32 v[vgprValuC+59], acc46 // copy acc to vreg[51]
v_accvgpr_read_b32 v[vgprValuC+60], acc50 // copy acc to vreg[52]
v_accvgpr_read_b32 v[vgprValuC+61], acc54 // copy acc to vreg[53]
v_accvgpr_read_b32 v[vgprValuC+62], acc58 // copy acc to vreg[54]
v_accvgpr_read_b32 v[vgprValuC+63], acc62 // copy acc to vreg[55]
v_accvgpr_read_b32 v[vgprValuC+64], acc35 // copy acc to vreg[56]
v_accvgpr_read_b32 v[vgprValuC+65], acc39 // copy acc to vreg[57]
v_accvgpr_read_b32 v[vgprValuC+66], acc43 // copy acc to vreg[58]
v_accvgpr_read_b32 v[vgprValuC+67], acc47 // copy acc to vreg[59]
v_accvgpr_read_b32 v[vgprValuC+76], acc51 // copy acc to vreg[60]
v_accvgpr_read_b32 v[vgprValuC+77], acc55 // copy acc to vreg[61]
v_accvgpr_read_b32 v[vgprValuC+78], acc59 // copy acc to vreg[62]
v_accvgpr_read_b32 v[vgprValuC+79], acc63 // copy acc to vreg[63]
s_nop 1                                            // 2 wait states required before reading vgpr

/* rC *= alpha batchElements=[(0, 0, 0, 0), (0, 0, 1, 0), (0, 0, 2, 0), (0, 0, 3, 0), (0, 0, 4, 0), (0, 0, 5, 0), (0, 0, 6, 0), (0, 0, 7, 0), (1, 0, 0, 0), (1, 0, 1, 0), (1, 0, 2, 0), (1, 0, 3, 0), (1, 0, 4, 0), (1, 0, 5, 0), (1, 0, 6, 0), (1, 0, 7, 0)] */
v_mul_f32 v[vgprValuC+8], s[sgprAlpha], v[vgprValuC+8] // *= alpha
v_mul_f32 v[vgprValuC+9], s[sgprAlpha], v[vgprValuC+9] // *= alpha
	;; [unrolled: 1-line block ×64, first 2 shown]

/* apply mask, calc new C and issue writes */
v_cvt_f16_f32 v[vgprValuC+8], v[vgprValuC+8]       // convert C to fp16
v_cvt_f16_f32 v[vgprValuC+9], v[vgprValuC+9]       // convert C to fp16
v_pack_b32_f16 v8, v[vgprValuC+8], v[vgprValuC+9]  // Pack with neighbor
v_cvt_f16_f32 v[vgprValuC+10], v[vgprValuC+10]     // convert C to fp16
v_cvt_f16_f32 v[vgprValuC+11], v[vgprValuC+11]     // convert C to fp16
v_pack_b32_f16 v9, v[vgprValuC+10], v[vgprValuC+11] // Pack with neighbor
_buffer_store_b64 v[8:9], v6, s[sgprSrdD:sgprSrdD+3], 0, offen, offset:0 // store D
v_cvt_f16_f32 v[vgprValuC+12], v[vgprValuC+12]     // convert C to fp16
v_cvt_f16_f32 v[vgprValuC+13], v[vgprValuC+13]     // convert C to fp16
v_pack_b32_f16 v12, v[vgprValuC+12], v[vgprValuC+13] // Pack with neighbor
v_cvt_f16_f32 v[vgprValuC+14], v[vgprValuC+14]     // convert C to fp16
v_cvt_f16_f32 v[vgprValuC+15], v[vgprValuC+15]     // convert C to fp16
v_pack_b32_f16 v13, v[vgprValuC+14], v[vgprValuC+15] // Pack with neighbor
s_lshl_b32  s54, s[sgprStrideD1J], 1               // incToNextRow: Scale by BPE
s_add_u32  s[sgprSrdD+0], s[sgprSrdD+0], s54       // incToNextRow: gra SRD += inc(lower)
s_addc_u32  s[sgprSrdD+1], s[sgprSrdD+1], 0        // incToNextRow: gra SRD += inc(upper)
_buffer_store_b64 v[12:13], v6, s[sgprSrdD:sgprSrdD+3], 0, offen, offset:0 // store D
v_cvt_f16_f32 v[vgprValuC+16], v[vgprValuC+16]     // convert C to fp16
v_cvt_f16_f32 v[vgprValuC+17], v[vgprValuC+17]     // convert C to fp16
v_pack_b32_f16 v16, v[vgprValuC+16], v[vgprValuC+17] // Pack with neighbor
v_cvt_f16_f32 v[vgprValuC+18], v[vgprValuC+18]     // convert C to fp16
v_cvt_f16_f32 v[vgprValuC+19], v[vgprValuC+19]     // convert C to fp16
v_pack_b32_f16 v17, v[vgprValuC+18], v[vgprValuC+19] // Pack with neighbor
s_lshl_b32  s54, s[sgprStrideD1J], 1               // incToNextRow: Scale by BPE
s_add_u32  s[sgprSrdD+0], s[sgprSrdD+0], s54       // incToNextRow: gra SRD += inc(lower)
s_addc_u32  s[sgprSrdD+1], s[sgprSrdD+1], 0        // incToNextRow: gra SRD += inc(upper)
	;; [unrolled: 10-line block ×7, first 2 shown]
_buffer_store_b64 v[36:37], v6, s[sgprSrdD:sgprSrdD+3], 0, offen, offset:0 // store D
v_cvt_f16_f32 v[vgprValuC+40], v[vgprValuC+40]     // convert C to fp16
v_cvt_f16_f32 v[vgprValuC+41], v[vgprValuC+41]     // convert C to fp16
v_pack_b32_f16 v40, v[vgprValuC+40], v[vgprValuC+41] // Pack with neighbor
v_cvt_f16_f32 v[vgprValuC+42], v[vgprValuC+42]     // convert C to fp16
v_cvt_f16_f32 v[vgprValuC+43], v[vgprValuC+43]     // convert C to fp16
v_pack_b32_f16 v41, v[vgprValuC+42], v[vgprValuC+43] // Pack with neighbor
s_mul_i32 s54, s[sgprStrideD1J], 114               // scale StrideD *= numRows(57) * bpe
s_add_u32  s[sgprSrdD+0], s[sgprSrdD+0], s54       // incToNextRow: gra SRD += inc(lower)
s_addc_u32  s[sgprSrdD+1], s[sgprSrdD+1], 0        // incToNextRow: gra SRD += inc(upper)
_buffer_store_b64 v[40:41], v6, s[sgprSrdD:sgprSrdD+3], 0, offen, offset:0 // store D
v_cvt_f16_f32 v[vgprValuC+44], v[vgprValuC+44]     // convert C to fp16
v_cvt_f16_f32 v[vgprValuC+45], v[vgprValuC+45]     // convert C to fp16
v_pack_b32_f16 v44, v[vgprValuC+44], v[vgprValuC+45] // Pack with neighbor
v_cvt_f16_f32 v[vgprValuC+46], v[vgprValuC+46]     // convert C to fp16
v_cvt_f16_f32 v[vgprValuC+47], v[vgprValuC+47]     // convert C to fp16
v_pack_b32_f16 v45, v[vgprValuC+46], v[vgprValuC+47] // Pack with neighbor
s_lshl_b32  s54, s[sgprStrideD1J], 1               // incToNextRow: Scale by BPE
s_add_u32  s[sgprSrdD+0], s[sgprSrdD+0], s54       // incToNextRow: gra SRD += inc(lower)
s_addc_u32  s[sgprSrdD+1], s[sgprSrdD+1], 0        // incToNextRow: gra SRD += inc(upper)
_buffer_store_b64 v[44:45], v6, s[sgprSrdD:sgprSrdD+3], 0, offen, offset:0 // store D
v_cvt_f16_f32 v[vgprValuC+48], v[vgprValuC+48]     // convert C to fp16
v_cvt_f16_f32 v[vgprValuC+49], v[vgprValuC+49]     // convert C to fp16
v_pack_b32_f16 v48, v[vgprValuC+48], v[vgprValuC+49] // Pack with neighbor
v_cvt_f16_f32 v[vgprValuC+50], v[vgprValuC+50]     // convert C to fp16
v_cvt_f16_f32 v[vgprValuC+51], v[vgprValuC+51]     // convert C to fp16
v_pack_b32_f16 v49, v[vgprValuC+50], v[vgprValuC+51] // Pack with neighbor
s_lshl_b32  s54, s[sgprStrideD1J], 1               // incToNextRow: Scale by BPE
	;; [unrolled: 10-line block ×7, first 2 shown]
s_add_u32  s[sgprSrdD+0], s[sgprSrdD+0], s54       // incToNextRow: gra SRD += inc(lower)
s_addc_u32  s[sgprSrdD+1], s[sgprSrdD+1], 0        // incToNextRow: gra SRD += inc(upper)
_buffer_store_b64 v[76:77], v6, s[sgprSrdD:sgprSrdD+3], 0, offen, offset:0 // store D
s_nop 0                                            // 1 wait state required when next inst writes vgprs held by previous dwordx4 store inst
s_branch label_GW_End_108                          // jump to end
GW_B0_E1_100:

/* edge=1, allocate 6 sgpr. perBatchTmpS=4 perBatchMaskS=2 perElementMaskS=0 elementsPerBatch=16 */
/* optSingleColVgpr=0 optSharedColVgpr=0 optSGPRUsage=BufferLoad_Edge_Mask optSrdIncForRow=0 */
s_sleep 3 // optimization: sync and wait
s_barrier

/******************************************/
/* Global Write Alpha Edge Batch #0 (d1,d0,vc1,vc0) = */
/*    (0,0,0,0:vw1); (0,0,0,1:vw1); (0,0,0,2:vw1); (0,0,0,3:vw1); (0,0,1,0:vw1); (0,0,1,1:vw1); (0,0,1,2:vw1); (0,0,1,3:vw1); (0,0,2,0:vw1); (0,0,2,1:vw1); (0,0,2,2:vw1); (0,0,2,3:vw1); (0,0,3,0:vw1); (0,0,3,1:vw1); (0,0,3,2:vw1); (0,0,3,3:vw1) */
/******************************************/

/* calc coords, apply mask, and issue loads (if necessary) */
/* (d1,vc1,d0,vc0)=(0,0,0,0) */
v_cmp_lt_u32 s[54:55], v0, s[sgprSizeI]            // coord0 < size0
v_cmp_lt_u32 s[58:59], v1, s[sgprSizeJ]            // coord1 < size1
s_and_b64 s[58:59], s[54:55], s[58:59]             // in0 && in1
_v_add_lshl_u32 v6, v3, v0, 0x1                    // scaleToBpe: accumulate d0 lower and *= bpe into Cin addr
v_cndmask_b32 v6, -1, v6, s[58:59]                 // LDD clip if OOB. offset
/* (d1,vc1,d0,vc0)=(0,0,0,1) */
_v_add_co_u32 v4, vcc, v0, 1                       // coord0.1: coord0 += d0*sg0*VW + vc0
v_cmp_lt_u32 s[54:55], v4, s[sgprSizeI]            // coord0 < size0
v_cmp_lt_u32 s[58:59], v1, s[sgprSizeJ]            // coord1 < size1
s_and_b64 s[58:59], s[54:55], s[58:59]             // in0 && in1
_v_add_lshl_u32 v8, v3, v4, 0x1                    // scaleToBpe: accumulate d0 lower and *= bpe into Cin addr
v_cndmask_b32 v8, -1, v8, s[58:59]                 // LDD clip if OOB. offset
/* (d1,vc1,d0,vc0)=(0,0,0,2) */
_v_add_co_u32 v4, vcc, v0, 2                       // coord0.1: coord0 += d0*sg0*VW + vc0
v_cmp_lt_u32 s[54:55], v4, s[sgprSizeI]            // coord0 < size0
v_cmp_lt_u32 s[58:59], v1, s[sgprSizeJ]            // coord1 < size1
s_and_b64 s[58:59], s[54:55], s[58:59]             // in0 && in1
_v_add_lshl_u32 v10, v3, v4, 0x1                   // scaleToBpe: accumulate d0 lower and *= bpe into Cin addr
v_cndmask_b32 v10, -1, v10, s[58:59]               // LDD clip if OOB. offset
/* (d1,vc1,d0,vc0)=(0,0,0,3) */
_v_add_co_u32 v4, vcc, v0, 3                       // coord0.1: coord0 += d0*sg0*VW + vc0
v_cmp_lt_u32 s[54:55], v4, s[sgprSizeI]            // coord0 < size0
v_cmp_lt_u32 s[58:59], v1, s[sgprSizeJ]            // coord1 < size1
s_and_b64 s[58:59], s[54:55], s[58:59]             // in0 && in1
_v_add_lshl_u32 v12, v3, v4, 0x1                   // scaleToBpe: accumulate d0 lower and *= bpe into Cin addr
v_cndmask_b32 v12, -1, v12, s[58:59]               // LDD clip if OOB. offset
/* (d1,vc1,d0,vc0)=(0,1,0,0) */
_v_add_co_u32 v1, vcc, v1, 1                       // coord1.1: coord1Vgpr += d1*sg1*VW + vc1

/* Fix for UseInitialStridesCD, emitAddressSetupCode */
_v_add_u32 v2, v2, s[sgprStrideC1J]                // ROWINC- Move cinRowPtr to next row
_v_add_u32 v3, v3, s[sgprStrideD1J]                // Move coutRowPtr to next row
v_cmp_lt_u32 s[54:55], v0, s[sgprSizeI]            // coord0 < size0
v_cmp_lt_u32 s[58:59], v1, s[sgprSizeJ]            // coord1 < size1
s_and_b64 s[58:59], s[54:55], s[58:59]             // in0 && in1
_v_add_lshl_u32 v14, v3, v0, 0x1                   // scaleToBpe: accumulate d0 lower and *= bpe into Cin addr
v_cndmask_b32 v14, -1, v14, s[58:59]               // LDD clip if OOB. offset
/* (d1,vc1,d0,vc0)=(0,1,0,1) */
_v_add_co_u32 v4, vcc, v0, 1                       // coord0.1: coord0 += d0*sg0*VW + vc0
v_cmp_lt_u32 s[54:55], v4, s[sgprSizeI]            // coord0 < size0
v_cmp_lt_u32 s[58:59], v1, s[sgprSizeJ]            // coord1 < size1
s_and_b64 s[58:59], s[54:55], s[58:59]             // in0 && in1
_v_add_lshl_u32 v16, v3, v4, 0x1                   // scaleToBpe: accumulate d0 lower and *= bpe into Cin addr
v_cndmask_b32 v16, -1, v16, s[58:59]               // LDD clip if OOB. offset
/* (d1,vc1,d0,vc0)=(0,1,0,2) */
_v_add_co_u32 v4, vcc, v0, 2                       // coord0.1: coord0 += d0*sg0*VW + vc0
v_cmp_lt_u32 s[54:55], v4, s[sgprSizeI]            // coord0 < size0
v_cmp_lt_u32 s[58:59], v1, s[sgprSizeJ]            // coord1 < size1
s_and_b64 s[58:59], s[54:55], s[58:59]             // in0 && in1
_v_add_lshl_u32 v18, v3, v4, 0x1                   // scaleToBpe: accumulate d0 lower and *= bpe into Cin addr
v_cndmask_b32 v18, -1, v18, s[58:59]               // LDD clip if OOB. offset
/* (d1,vc1,d0,vc0)=(0,1,0,3) */
_v_add_co_u32 v4, vcc, v0, 3                       // coord0.1: coord0 += d0*sg0*VW + vc0
v_cmp_lt_u32 s[54:55], v4, s[sgprSizeI]            // coord0 < size0
v_cmp_lt_u32 s[58:59], v1, s[sgprSizeJ]            // coord1 < size1
s_and_b64 s[58:59], s[54:55], s[58:59]             // in0 && in1
_v_add_lshl_u32 v20, v3, v4, 0x1                   // scaleToBpe: accumulate d0 lower and *= bpe into Cin addr
v_cndmask_b32 v20, -1, v20, s[58:59]               // LDD clip if OOB. offset
/* (d1,vc1,d0,vc0)=(0,2,0,0) */
_v_add_co_u32 v1, vcc, v1, 1                       // coord1.1: coord1Vgpr += d1*sg1*VW + vc1

/* Fix for UseInitialStridesCD, emitAddressSetupCode */
_v_add_u32 v2, v2, s[sgprStrideC1J]                // ROWINC- Move cinRowPtr to next row
_v_add_u32 v3, v3, s[sgprStrideD1J]                // Move coutRowPtr to next row
v_cmp_lt_u32 s[54:55], v0, s[sgprSizeI]            // coord0 < size0
v_cmp_lt_u32 s[58:59], v1, s[sgprSizeJ]            // coord1 < size1
s_and_b64 s[58:59], s[54:55], s[58:59]             // in0 && in1
_v_add_lshl_u32 v22, v3, v0, 0x1                   // scaleToBpe: accumulate d0 lower and *= bpe into Cin addr
v_cndmask_b32 v22, -1, v22, s[58:59]               // LDD clip if OOB. offset
/* (d1,vc1,d0,vc0)=(0,2,0,1) */
_v_add_co_u32 v4, vcc, v0, 1                       // coord0.1: coord0 += d0*sg0*VW + vc0
v_cmp_lt_u32 s[54:55], v4, s[sgprSizeI]            // coord0 < size0
v_cmp_lt_u32 s[58:59], v1, s[sgprSizeJ]            // coord1 < size1
s_and_b64 s[58:59], s[54:55], s[58:59]             // in0 && in1
_v_add_lshl_u32 v24, v3, v4, 0x1                   // scaleToBpe: accumulate d0 lower and *= bpe into Cin addr
v_cndmask_b32 v24, -1, v24, s[58:59]               // LDD clip if OOB. offset
	;; [unrolled: 32-line block ×3, first 2 shown]
/* (d1,vc1,d0,vc0)=(0,3,0,2) */
_v_add_co_u32 v4, vcc, v0, 2                       // coord0.1: coord0 += d0*sg0*VW + vc0
v_cmp_lt_u32 s[54:55], v4, s[sgprSizeI]            // coord0 < size0
v_cmp_lt_u32 s[58:59], v1, s[sgprSizeJ]            // coord1 < size1
s_and_b64 s[58:59], s[54:55], s[58:59]             // in0 && in1
_v_add_lshl_u32 v34, v3, v4, 0x1                   // scaleToBpe: accumulate d0 lower and *= bpe into Cin addr
v_cndmask_b32 v34, -1, v34, s[58:59]               // LDD clip if OOB. offset
/* (d1,vc1,d0,vc0)=(0,3,0,3) */
_v_add_co_u32 v4, vcc, v0, 3                       // coord0.1: coord0 += d0*sg0*VW + vc0
v_cmp_lt_u32 s[54:55], v4, s[sgprSizeI]            // coord0 < size0
v_cmp_lt_u32 s[58:59], v1, s[sgprSizeJ]            // coord1 < size1
s_and_b64 s[58:59], s[54:55], s[58:59]             // in0 && in1
_v_add_lshl_u32 v36, v3, v4, 0x1                   // scaleToBpe: accumulate d0 lower and *= bpe into Cin addr
v_cndmask_b32 v36, -1, v36, s[58:59]               // LDD clip if OOB. offset
v_accvgpr_read_b32 v[vgprValuC+7], acc0 // copy acc to vreg[0]
v_accvgpr_read_b32 v[vgprValuC+9], acc4 // copy acc to vreg[1]
v_accvgpr_read_b32 v[vgprValuC+11], acc8 // copy acc to vreg[2]
v_accvgpr_read_b32 v[vgprValuC+13], acc12 // copy acc to vreg[3]
v_accvgpr_read_b32 v[vgprValuC+15], acc16 // copy acc to vreg[4]
v_accvgpr_read_b32 v[vgprValuC+17], acc20 // copy acc to vreg[5]
v_accvgpr_read_b32 v[vgprValuC+19], acc24 // copy acc to vreg[6]
v_accvgpr_read_b32 v[vgprValuC+21], acc28 // copy acc to vreg[7]
v_accvgpr_read_b32 v[vgprValuC+23], acc1 // copy acc to vreg[8]
v_accvgpr_read_b32 v[vgprValuC+25], acc5 // copy acc to vreg[9]
v_accvgpr_read_b32 v[vgprValuC+27], acc9 // copy acc to vreg[10]
v_accvgpr_read_b32 v[vgprValuC+29], acc13 // copy acc to vreg[11]
v_accvgpr_read_b32 v[vgprValuC+31], acc17 // copy acc to vreg[12]
v_accvgpr_read_b32 v[vgprValuC+33], acc21 // copy acc to vreg[13]
v_accvgpr_read_b32 v[vgprValuC+35], acc25 // copy acc to vreg[14]
v_accvgpr_read_b32 v[vgprValuC+37], acc29 // copy acc to vreg[15]
s_nop 1                                            // 2 wait states required before reading vgpr

/* rC *= alpha batchElements=[(0, 0, 0, 0), (0, 0, 0, 1), (0, 0, 0, 2), (0, 0, 0, 3), (0, 0, 1, 0), (0, 0, 1, 1), (0, 0, 1, 2), (0, 0, 1, 3), (0, 0, 2, 0), (0, 0, 2, 1), (0, 0, 2, 2), (0, 0, 2, 3), (0, 0, 3, 0), (0, 0, 3, 1), (0, 0, 3, 2), (0, 0, 3, 3)] */
v_mul_f32 v[vgprValuC+7], s[sgprAlpha], v[vgprValuC+7] // *= alpha
v_mul_f32 v[vgprValuC+9], s[sgprAlpha], v[vgprValuC+9] // *= alpha
v_mul_f32 v[vgprValuC+11], s[sgprAlpha], v[vgprValuC+11] // *= alpha
v_mul_f32 v[vgprValuC+13], s[sgprAlpha], v[vgprValuC+13] // *= alpha
v_mul_f32 v[vgprValuC+15], s[sgprAlpha], v[vgprValuC+15] // *= alpha
v_mul_f32 v[vgprValuC+17], s[sgprAlpha], v[vgprValuC+17] // *= alpha
v_mul_f32 v[vgprValuC+19], s[sgprAlpha], v[vgprValuC+19] // *= alpha
v_mul_f32 v[vgprValuC+21], s[sgprAlpha], v[vgprValuC+21] // *= alpha
v_mul_f32 v[vgprValuC+23], s[sgprAlpha], v[vgprValuC+23] // *= alpha
v_mul_f32 v[vgprValuC+25], s[sgprAlpha], v[vgprValuC+25] // *= alpha
v_mul_f32 v[vgprValuC+27], s[sgprAlpha], v[vgprValuC+27] // *= alpha
v_mul_f32 v[vgprValuC+29], s[sgprAlpha], v[vgprValuC+29] // *= alpha
v_mul_f32 v[vgprValuC+31], s[sgprAlpha], v[vgprValuC+31] // *= alpha
v_mul_f32 v[vgprValuC+33], s[sgprAlpha], v[vgprValuC+33] // *= alpha
v_mul_f32 v[vgprValuC+35], s[sgprAlpha], v[vgprValuC+35] // *= alpha
v_mul_f32 v[vgprValuC+37], s[sgprAlpha], v[vgprValuC+37] // *= alpha

/* apply mask, calc new C and issue writes */
v_cvt_f16_f32 v[vgprValuC+7], v[vgprValuC+7]       // convert C to fp16
_buffer_store_b16 v7, v6, s[sgprSrdD:sgprSrdD+3], 0, offen, offset:0 // store D
v_cvt_f16_f32 v[vgprValuC+9], v[vgprValuC+9]       // convert C to fp16
_buffer_store_b16 v9, v8, s[sgprSrdD:sgprSrdD+3], 0, offen, offset:0 // store D
v_cvt_f16_f32 v[vgprValuC+11], v[vgprValuC+11]     // convert C to fp16
_buffer_store_b16 v11, v10, s[sgprSrdD:sgprSrdD+3], 0, offen, offset:0 // store D
v_cvt_f16_f32 v[vgprValuC+13], v[vgprValuC+13]     // convert C to fp16
	;; [unrolled: 2-line block ×14, first 2 shown]
_buffer_store_b16 v37, v36, s[sgprSrdD:sgprSrdD+3], 0, offen, offset:0 // store D
s_nop 0                                            // 1 wait state required when next inst writes vgprs held by previous dwordx4 store inst
/* optSingleColVgpr=0 optSharedColVgpr=0 optSGPRUsage=BufferLoad_Edge_Mask optSrdIncForRow=0 */
s_sleep 3 // optimization: sync and wait
s_barrier

/******************************************/
/* Global Write Alpha Edge Batch #1 (d1,d0,vc1,vc0) = */
/*    (0,0,4,0:vw1); (0,0,4,1:vw1); (0,0,4,2:vw1); (0,0,4,3:vw1); (0,0,5,0:vw1); (0,0,5,1:vw1); (0,0,5,2:vw1); (0,0,5,3:vw1); (0,0,6,0:vw1); (0,0,6,1:vw1); (0,0,6,2:vw1); (0,0,6,3:vw1); (0,0,7,0:vw1); (0,0,7,1:vw1); (0,0,7,2:vw1); (0,0,7,3:vw1) */
/******************************************/

/* calc coords, apply mask, and issue loads (if necessary) */
/* (d1,vc1,d0,vc0)=(0,4,0,0) */
_v_add_co_u32 v1, vcc, v1, 1                       // coord1.1: coord1Vgpr += d1*sg1*VW + vc1

/* Fix for UseInitialStridesCD, emitAddressSetupCode */
_v_add_u32 v2, v2, s[sgprStrideC1J]                // ROWINC- Move cinRowPtr to next row
_v_add_u32 v3, v3, s[sgprStrideD1J]                // Move coutRowPtr to next row
v_cmp_lt_u32 s[54:55], v0, s[sgprSizeI]            // coord0 < size0
v_cmp_lt_u32 s[58:59], v1, s[sgprSizeJ]            // coord1 < size1
s_and_b64 s[58:59], s[54:55], s[58:59]             // in0 && in1
_v_add_lshl_u32 v6, v3, v0, 0x1                    // scaleToBpe: accumulate d0 lower and *= bpe into Cin addr
v_cndmask_b32 v6, -1, v6, s[58:59]                 // LDD clip if OOB. offset
/* (d1,vc1,d0,vc0)=(0,4,0,1) */
_v_add_co_u32 v4, vcc, v0, 1                       // coord0.1: coord0 += d0*sg0*VW + vc0
v_cmp_lt_u32 s[54:55], v4, s[sgprSizeI]            // coord0 < size0
v_cmp_lt_u32 s[58:59], v1, s[sgprSizeJ]            // coord1 < size1
s_and_b64 s[58:59], s[54:55], s[58:59]             // in0 && in1
_v_add_lshl_u32 v8, v3, v4, 0x1                    // scaleToBpe: accumulate d0 lower and *= bpe into Cin addr
v_cndmask_b32 v8, -1, v8, s[58:59]                 // LDD clip if OOB. offset
/* (d1,vc1,d0,vc0)=(0,4,0,2) */
_v_add_co_u32 v4, vcc, v0, 2                       // coord0.1: coord0 += d0*sg0*VW + vc0
v_cmp_lt_u32 s[54:55], v4, s[sgprSizeI]            // coord0 < size0
v_cmp_lt_u32 s[58:59], v1, s[sgprSizeJ]            // coord1 < size1
s_and_b64 s[58:59], s[54:55], s[58:59]             // in0 && in1
_v_add_lshl_u32 v10, v3, v4, 0x1                   // scaleToBpe: accumulate d0 lower and *= bpe into Cin addr
v_cndmask_b32 v10, -1, v10, s[58:59]               // LDD clip if OOB. offset
/* (d1,vc1,d0,vc0)=(0,4,0,3) */
_v_add_co_u32 v4, vcc, v0, 3                       // coord0.1: coord0 += d0*sg0*VW + vc0
v_cmp_lt_u32 s[54:55], v4, s[sgprSizeI]            // coord0 < size0
v_cmp_lt_u32 s[58:59], v1, s[sgprSizeJ]            // coord1 < size1
s_and_b64 s[58:59], s[54:55], s[58:59]             // in0 && in1
_v_add_lshl_u32 v12, v3, v4, 0x1                   // scaleToBpe: accumulate d0 lower and *= bpe into Cin addr
v_cndmask_b32 v12, -1, v12, s[58:59]               // LDD clip if OOB. offset
/* (d1,vc1,d0,vc0)=(0,5,0,0) */
_v_add_co_u32 v1, vcc, v1, 1                       // coord1.1: coord1Vgpr += d1*sg1*VW + vc1

/* Fix for UseInitialStridesCD, emitAddressSetupCode */
_v_add_u32 v2, v2, s[sgprStrideC1J]                // ROWINC- Move cinRowPtr to next row
_v_add_u32 v3, v3, s[sgprStrideD1J]                // Move coutRowPtr to next row
v_cmp_lt_u32 s[54:55], v0, s[sgprSizeI]            // coord0 < size0
v_cmp_lt_u32 s[58:59], v1, s[sgprSizeJ]            // coord1 < size1
s_and_b64 s[58:59], s[54:55], s[58:59]             // in0 && in1
_v_add_lshl_u32 v14, v3, v0, 0x1                   // scaleToBpe: accumulate d0 lower and *= bpe into Cin addr
v_cndmask_b32 v14, -1, v14, s[58:59]               // LDD clip if OOB. offset
/* (d1,vc1,d0,vc0)=(0,5,0,1) */
_v_add_co_u32 v4, vcc, v0, 1                       // coord0.1: coord0 += d0*sg0*VW + vc0
v_cmp_lt_u32 s[54:55], v4, s[sgprSizeI]            // coord0 < size0
v_cmp_lt_u32 s[58:59], v1, s[sgprSizeJ]            // coord1 < size1
s_and_b64 s[58:59], s[54:55], s[58:59]             // in0 && in1
_v_add_lshl_u32 v16, v3, v4, 0x1                   // scaleToBpe: accumulate d0 lower and *= bpe into Cin addr
v_cndmask_b32 v16, -1, v16, s[58:59]               // LDD clip if OOB. offset
/* (d1,vc1,d0,vc0)=(0,5,0,2) */
_v_add_co_u32 v4, vcc, v0, 2                       // coord0.1: coord0 += d0*sg0*VW + vc0
v_cmp_lt_u32 s[54:55], v4, s[sgprSizeI]            // coord0 < size0
v_cmp_lt_u32 s[58:59], v1, s[sgprSizeJ]            // coord1 < size1
s_and_b64 s[58:59], s[54:55], s[58:59]             // in0 && in1
_v_add_lshl_u32 v18, v3, v4, 0x1                   // scaleToBpe: accumulate d0 lower and *= bpe into Cin addr
v_cndmask_b32 v18, -1, v18, s[58:59]               // LDD clip if OOB. offset
/* (d1,vc1,d0,vc0)=(0,5,0,3) */
_v_add_co_u32 v4, vcc, v0, 3                       // coord0.1: coord0 += d0*sg0*VW + vc0
v_cmp_lt_u32 s[54:55], v4, s[sgprSizeI]            // coord0 < size0
v_cmp_lt_u32 s[58:59], v1, s[sgprSizeJ]            // coord1 < size1
s_and_b64 s[58:59], s[54:55], s[58:59]             // in0 && in1
_v_add_lshl_u32 v20, v3, v4, 0x1                   // scaleToBpe: accumulate d0 lower and *= bpe into Cin addr
v_cndmask_b32 v20, -1, v20, s[58:59]               // LDD clip if OOB. offset
/* (d1,vc1,d0,vc0)=(0,6,0,0) */
_v_add_co_u32 v1, vcc, v1, 1                       // coord1.1: coord1Vgpr += d1*sg1*VW + vc1

/* Fix for UseInitialStridesCD, emitAddressSetupCode */
_v_add_u32 v2, v2, s[sgprStrideC1J]                // ROWINC- Move cinRowPtr to next row
_v_add_u32 v3, v3, s[sgprStrideD1J]                // Move coutRowPtr to next row
v_cmp_lt_u32 s[54:55], v0, s[sgprSizeI]            // coord0 < size0
v_cmp_lt_u32 s[58:59], v1, s[sgprSizeJ]            // coord1 < size1
s_and_b64 s[58:59], s[54:55], s[58:59]             // in0 && in1
_v_add_lshl_u32 v22, v3, v0, 0x1                   // scaleToBpe: accumulate d0 lower and *= bpe into Cin addr
v_cndmask_b32 v22, -1, v22, s[58:59]               // LDD clip if OOB. offset
/* (d1,vc1,d0,vc0)=(0,6,0,1) */
_v_add_co_u32 v4, vcc, v0, 1                       // coord0.1: coord0 += d0*sg0*VW + vc0
v_cmp_lt_u32 s[54:55], v4, s[sgprSizeI]            // coord0 < size0
v_cmp_lt_u32 s[58:59], v1, s[sgprSizeJ]            // coord1 < size1
s_and_b64 s[58:59], s[54:55], s[58:59]             // in0 && in1
_v_add_lshl_u32 v24, v3, v4, 0x1                   // scaleToBpe: accumulate d0 lower and *= bpe into Cin addr
v_cndmask_b32 v24, -1, v24, s[58:59]               // LDD clip if OOB. offset
	;; [unrolled: 32-line block ×3, first 2 shown]
/* (d1,vc1,d0,vc0)=(0,7,0,2) */
_v_add_co_u32 v4, vcc, v0, 2                       // coord0.1: coord0 += d0*sg0*VW + vc0
v_cmp_lt_u32 s[54:55], v4, s[sgprSizeI]            // coord0 < size0
v_cmp_lt_u32 s[58:59], v1, s[sgprSizeJ]            // coord1 < size1
s_and_b64 s[58:59], s[54:55], s[58:59]             // in0 && in1
_v_add_lshl_u32 v34, v3, v4, 0x1                   // scaleToBpe: accumulate d0 lower and *= bpe into Cin addr
v_cndmask_b32 v34, -1, v34, s[58:59]               // LDD clip if OOB. offset
/* (d1,vc1,d0,vc0)=(0,7,0,3) */
_v_add_co_u32 v4, vcc, v0, 3                       // coord0.1: coord0 += d0*sg0*VW + vc0
v_cmp_lt_u32 s[54:55], v4, s[sgprSizeI]            // coord0 < size0
v_cmp_lt_u32 s[58:59], v1, s[sgprSizeJ]            // coord1 < size1
s_and_b64 s[58:59], s[54:55], s[58:59]             // in0 && in1
_v_add_lshl_u32 v36, v3, v4, 0x1                   // scaleToBpe: accumulate d0 lower and *= bpe into Cin addr
v_cndmask_b32 v36, -1, v36, s[58:59]               // LDD clip if OOB. offset
v_accvgpr_read_b32 v[vgprValuC+7], acc2 // copy acc to vreg[16]
v_accvgpr_read_b32 v[vgprValuC+9], acc6 // copy acc to vreg[17]
v_accvgpr_read_b32 v[vgprValuC+11], acc10 // copy acc to vreg[18]
v_accvgpr_read_b32 v[vgprValuC+13], acc14 // copy acc to vreg[19]
v_accvgpr_read_b32 v[vgprValuC+15], acc18 // copy acc to vreg[20]
v_accvgpr_read_b32 v[vgprValuC+17], acc22 // copy acc to vreg[21]
v_accvgpr_read_b32 v[vgprValuC+19], acc26 // copy acc to vreg[22]
v_accvgpr_read_b32 v[vgprValuC+21], acc30 // copy acc to vreg[23]
v_accvgpr_read_b32 v[vgprValuC+23], acc3 // copy acc to vreg[24]
v_accvgpr_read_b32 v[vgprValuC+25], acc7 // copy acc to vreg[25]
v_accvgpr_read_b32 v[vgprValuC+27], acc11 // copy acc to vreg[26]
v_accvgpr_read_b32 v[vgprValuC+29], acc15 // copy acc to vreg[27]
v_accvgpr_read_b32 v[vgprValuC+31], acc19 // copy acc to vreg[28]
v_accvgpr_read_b32 v[vgprValuC+33], acc23 // copy acc to vreg[29]
v_accvgpr_read_b32 v[vgprValuC+35], acc27 // copy acc to vreg[30]
v_accvgpr_read_b32 v[vgprValuC+37], acc31 // copy acc to vreg[31]
s_nop 1                                            // 2 wait states required before reading vgpr

/* rC *= alpha batchElements=[(0, 0, 4, 0), (0, 0, 4, 1), (0, 0, 4, 2), (0, 0, 4, 3), (0, 0, 5, 0), (0, 0, 5, 1), (0, 0, 5, 2), (0, 0, 5, 3), (0, 0, 6, 0), (0, 0, 6, 1), (0, 0, 6, 2), (0, 0, 6, 3), (0, 0, 7, 0), (0, 0, 7, 1), (0, 0, 7, 2), (0, 0, 7, 3)] */
v_mul_f32 v[vgprValuC+7], s[sgprAlpha], v[vgprValuC+7] // *= alpha
v_mul_f32 v[vgprValuC+9], s[sgprAlpha], v[vgprValuC+9] // *= alpha
	;; [unrolled: 1-line block ×16, first 2 shown]

/* apply mask, calc new C and issue writes */
v_cvt_f16_f32 v[vgprValuC+7], v[vgprValuC+7]       // convert C to fp16
_buffer_store_b16 v7, v6, s[sgprSrdD:sgprSrdD+3], 0, offen, offset:0 // store D
v_cvt_f16_f32 v[vgprValuC+9], v[vgprValuC+9]       // convert C to fp16
_buffer_store_b16 v9, v8, s[sgprSrdD:sgprSrdD+3], 0, offen, offset:0 // store D
v_cvt_f16_f32 v[vgprValuC+11], v[vgprValuC+11]     // convert C to fp16
_buffer_store_b16 v11, v10, s[sgprSrdD:sgprSrdD+3], 0, offen, offset:0 // store D
v_cvt_f16_f32 v[vgprValuC+13], v[vgprValuC+13]     // convert C to fp16
	;; [unrolled: 2-line block ×14, first 2 shown]
_buffer_store_b16 v37, v36, s[sgprSrdD:sgprSrdD+3], 0, offen, offset:0 // store D
s_nop 0                                            // 1 wait state required when next inst writes vgprs held by previous dwordx4 store inst
/* optSingleColVgpr=0 optSharedColVgpr=0 optSGPRUsage=BufferLoad_Edge_Mask optSrdIncForRow=0 */
s_sleep 3 // optimization: sync and wait
s_barrier

/******************************************/
/* Global Write Alpha Edge Batch #2 (d1,d0,vc1,vc0) = */
/*    (1,0,0,0:vw1); (1,0,0,1:vw1); (1,0,0,2:vw1); (1,0,0,3:vw1); (1,0,1,0:vw1); (1,0,1,1:vw1); (1,0,1,2:vw1); (1,0,1,3:vw1); (1,0,2,0:vw1); (1,0,2,1:vw1); (1,0,2,2:vw1); (1,0,2,3:vw1); (1,0,3,0:vw1); (1,0,3,1:vw1); (1,0,3,2:vw1); (1,0,3,3:vw1) */
/******************************************/

/* calc coords, apply mask, and issue loads (if necessary) */
/* (d1,vc1,d0,vc0)=(1,0,0,0) */
_v_add_co_u32 v1, vcc, v1, 57                      // coord1.1: coord1Vgpr += d1*sg1*VW + vc1

/* Fix for UseInitialStridesCD, emitAddressSetupCode */
s_mul_i32 s54, s[sgprStrideC1J], 57                // scale stride
_v_add_u32 v2, v2, s54                             // ROWINC- Move cinRowPtr to next row
s_mul_i32 s54, s[sgprStrideD1J], 57                // scale stride
_v_add_u32 v3, v3, s54                             // Move coutRowPtr to next row
v_cmp_lt_u32 s[54:55], v0, s[sgprSizeI]            // coord0 < size0
v_cmp_lt_u32 s[58:59], v1, s[sgprSizeJ]            // coord1 < size1
s_and_b64 s[58:59], s[54:55], s[58:59]             // in0 && in1
_v_add_lshl_u32 v6, v3, v0, 0x1                    // scaleToBpe: accumulate d0 lower and *= bpe into Cin addr
v_cndmask_b32 v6, -1, v6, s[58:59]                 // LDD clip if OOB. offset
/* (d1,vc1,d0,vc0)=(1,0,0,1) */
_v_add_co_u32 v4, vcc, v0, 1                       // coord0.1: coord0 += d0*sg0*VW + vc0
v_cmp_lt_u32 s[54:55], v4, s[sgprSizeI]            // coord0 < size0
v_cmp_lt_u32 s[58:59], v1, s[sgprSizeJ]            // coord1 < size1
s_and_b64 s[58:59], s[54:55], s[58:59]             // in0 && in1
_v_add_lshl_u32 v8, v3, v4, 0x1                    // scaleToBpe: accumulate d0 lower and *= bpe into Cin addr
v_cndmask_b32 v8, -1, v8, s[58:59]                 // LDD clip if OOB. offset
/* (d1,vc1,d0,vc0)=(1,0,0,2) */
_v_add_co_u32 v4, vcc, v0, 2                       // coord0.1: coord0 += d0*sg0*VW + vc0
v_cmp_lt_u32 s[54:55], v4, s[sgprSizeI]            // coord0 < size0
v_cmp_lt_u32 s[58:59], v1, s[sgprSizeJ]            // coord1 < size1
s_and_b64 s[58:59], s[54:55], s[58:59]             // in0 && in1
_v_add_lshl_u32 v10, v3, v4, 0x1                   // scaleToBpe: accumulate d0 lower and *= bpe into Cin addr
v_cndmask_b32 v10, -1, v10, s[58:59]               // LDD clip if OOB. offset
/* (d1,vc1,d0,vc0)=(1,0,0,3) */
_v_add_co_u32 v4, vcc, v0, 3                       // coord0.1: coord0 += d0*sg0*VW + vc0
v_cmp_lt_u32 s[54:55], v4, s[sgprSizeI]            // coord0 < size0
v_cmp_lt_u32 s[58:59], v1, s[sgprSizeJ]            // coord1 < size1
s_and_b64 s[58:59], s[54:55], s[58:59]             // in0 && in1
_v_add_lshl_u32 v12, v3, v4, 0x1                   // scaleToBpe: accumulate d0 lower and *= bpe into Cin addr
v_cndmask_b32 v12, -1, v12, s[58:59]               // LDD clip if OOB. offset
/* (d1,vc1,d0,vc0)=(1,1,0,0) */
_v_add_co_u32 v1, vcc, v1, 1                       // coord1.1: coord1Vgpr += d1*sg1*VW + vc1

/* Fix for UseInitialStridesCD, emitAddressSetupCode */
_v_add_u32 v2, v2, s[sgprStrideC1J]                // ROWINC- Move cinRowPtr to next row
_v_add_u32 v3, v3, s[sgprStrideD1J]                // Move coutRowPtr to next row
v_cmp_lt_u32 s[54:55], v0, s[sgprSizeI]            // coord0 < size0
v_cmp_lt_u32 s[58:59], v1, s[sgprSizeJ]            // coord1 < size1
s_and_b64 s[58:59], s[54:55], s[58:59]             // in0 && in1
_v_add_lshl_u32 v14, v3, v0, 0x1                   // scaleToBpe: accumulate d0 lower and *= bpe into Cin addr
v_cndmask_b32 v14, -1, v14, s[58:59]               // LDD clip if OOB. offset
/* (d1,vc1,d0,vc0)=(1,1,0,1) */
_v_add_co_u32 v4, vcc, v0, 1                       // coord0.1: coord0 += d0*sg0*VW + vc0
v_cmp_lt_u32 s[54:55], v4, s[sgprSizeI]            // coord0 < size0
v_cmp_lt_u32 s[58:59], v1, s[sgprSizeJ]            // coord1 < size1
s_and_b64 s[58:59], s[54:55], s[58:59]             // in0 && in1
_v_add_lshl_u32 v16, v3, v4, 0x1                   // scaleToBpe: accumulate d0 lower and *= bpe into Cin addr
v_cndmask_b32 v16, -1, v16, s[58:59]               // LDD clip if OOB. offset
/* (d1,vc1,d0,vc0)=(1,1,0,2) */
_v_add_co_u32 v4, vcc, v0, 2                       // coord0.1: coord0 += d0*sg0*VW + vc0
v_cmp_lt_u32 s[54:55], v4, s[sgprSizeI]            // coord0 < size0
v_cmp_lt_u32 s[58:59], v1, s[sgprSizeJ]            // coord1 < size1
s_and_b64 s[58:59], s[54:55], s[58:59]             // in0 && in1
_v_add_lshl_u32 v18, v3, v4, 0x1                   // scaleToBpe: accumulate d0 lower and *= bpe into Cin addr
v_cndmask_b32 v18, -1, v18, s[58:59]               // LDD clip if OOB. offset
/* (d1,vc1,d0,vc0)=(1,1,0,3) */
_v_add_co_u32 v4, vcc, v0, 3                       // coord0.1: coord0 += d0*sg0*VW + vc0
v_cmp_lt_u32 s[54:55], v4, s[sgprSizeI]            // coord0 < size0
v_cmp_lt_u32 s[58:59], v1, s[sgprSizeJ]            // coord1 < size1
s_and_b64 s[58:59], s[54:55], s[58:59]             // in0 && in1
_v_add_lshl_u32 v20, v3, v4, 0x1                   // scaleToBpe: accumulate d0 lower and *= bpe into Cin addr
v_cndmask_b32 v20, -1, v20, s[58:59]               // LDD clip if OOB. offset
/* (d1,vc1,d0,vc0)=(1,2,0,0) */
_v_add_co_u32 v1, vcc, v1, 1                       // coord1.1: coord1Vgpr += d1*sg1*VW + vc1

/* Fix for UseInitialStridesCD, emitAddressSetupCode */
_v_add_u32 v2, v2, s[sgprStrideC1J]                // ROWINC- Move cinRowPtr to next row
_v_add_u32 v3, v3, s[sgprStrideD1J]                // Move coutRowPtr to next row
v_cmp_lt_u32 s[54:55], v0, s[sgprSizeI]            // coord0 < size0
v_cmp_lt_u32 s[58:59], v1, s[sgprSizeJ]            // coord1 < size1
s_and_b64 s[58:59], s[54:55], s[58:59]             // in0 && in1
_v_add_lshl_u32 v22, v3, v0, 0x1                   // scaleToBpe: accumulate d0 lower and *= bpe into Cin addr
v_cndmask_b32 v22, -1, v22, s[58:59]               // LDD clip if OOB. offset
/* (d1,vc1,d0,vc0)=(1,2,0,1) */
_v_add_co_u32 v4, vcc, v0, 1                       // coord0.1: coord0 += d0*sg0*VW + vc0
v_cmp_lt_u32 s[54:55], v4, s[sgprSizeI]            // coord0 < size0
v_cmp_lt_u32 s[58:59], v1, s[sgprSizeJ]            // coord1 < size1
s_and_b64 s[58:59], s[54:55], s[58:59]             // in0 && in1
_v_add_lshl_u32 v24, v3, v4, 0x1                   // scaleToBpe: accumulate d0 lower and *= bpe into Cin addr
v_cndmask_b32 v24, -1, v24, s[58:59]               // LDD clip if OOB. offset
	;; [unrolled: 32-line block ×3, first 2 shown]
/* (d1,vc1,d0,vc0)=(1,3,0,2) */
_v_add_co_u32 v4, vcc, v0, 2                       // coord0.1: coord0 += d0*sg0*VW + vc0
v_cmp_lt_u32 s[54:55], v4, s[sgprSizeI]            // coord0 < size0
v_cmp_lt_u32 s[58:59], v1, s[sgprSizeJ]            // coord1 < size1
s_and_b64 s[58:59], s[54:55], s[58:59]             // in0 && in1
_v_add_lshl_u32 v34, v3, v4, 0x1                   // scaleToBpe: accumulate d0 lower and *= bpe into Cin addr
v_cndmask_b32 v34, -1, v34, s[58:59]               // LDD clip if OOB. offset
/* (d1,vc1,d0,vc0)=(1,3,0,3) */
_v_add_co_u32 v4, vcc, v0, 3                       // coord0.1: coord0 += d0*sg0*VW + vc0
v_cmp_lt_u32 s[54:55], v4, s[sgprSizeI]            // coord0 < size0
v_cmp_lt_u32 s[58:59], v1, s[sgprSizeJ]            // coord1 < size1
s_and_b64 s[58:59], s[54:55], s[58:59]             // in0 && in1
_v_add_lshl_u32 v36, v3, v4, 0x1                   // scaleToBpe: accumulate d0 lower and *= bpe into Cin addr
v_cndmask_b32 v36, -1, v36, s[58:59]               // LDD clip if OOB. offset
v_accvgpr_read_b32 v[vgprValuC+7], acc32 // copy acc to vreg[32]
v_accvgpr_read_b32 v[vgprValuC+9], acc36 // copy acc to vreg[33]
v_accvgpr_read_b32 v[vgprValuC+11], acc40 // copy acc to vreg[34]
v_accvgpr_read_b32 v[vgprValuC+13], acc44 // copy acc to vreg[35]
v_accvgpr_read_b32 v[vgprValuC+15], acc48 // copy acc to vreg[36]
v_accvgpr_read_b32 v[vgprValuC+17], acc52 // copy acc to vreg[37]
v_accvgpr_read_b32 v[vgprValuC+19], acc56 // copy acc to vreg[38]
v_accvgpr_read_b32 v[vgprValuC+21], acc60 // copy acc to vreg[39]
v_accvgpr_read_b32 v[vgprValuC+23], acc33 // copy acc to vreg[40]
v_accvgpr_read_b32 v[vgprValuC+25], acc37 // copy acc to vreg[41]
v_accvgpr_read_b32 v[vgprValuC+27], acc41 // copy acc to vreg[42]
v_accvgpr_read_b32 v[vgprValuC+29], acc45 // copy acc to vreg[43]
v_accvgpr_read_b32 v[vgprValuC+31], acc49 // copy acc to vreg[44]
v_accvgpr_read_b32 v[vgprValuC+33], acc53 // copy acc to vreg[45]
v_accvgpr_read_b32 v[vgprValuC+35], acc57 // copy acc to vreg[46]
v_accvgpr_read_b32 v[vgprValuC+37], acc61 // copy acc to vreg[47]
s_nop 1                                            // 2 wait states required before reading vgpr

/* rC *= alpha batchElements=[(1, 0, 0, 0), (1, 0, 0, 1), (1, 0, 0, 2), (1, 0, 0, 3), (1, 0, 1, 0), (1, 0, 1, 1), (1, 0, 1, 2), (1, 0, 1, 3), (1, 0, 2, 0), (1, 0, 2, 1), (1, 0, 2, 2), (1, 0, 2, 3), (1, 0, 3, 0), (1, 0, 3, 1), (1, 0, 3, 2), (1, 0, 3, 3)] */
v_mul_f32 v[vgprValuC+7], s[sgprAlpha], v[vgprValuC+7] // *= alpha
v_mul_f32 v[vgprValuC+9], s[sgprAlpha], v[vgprValuC+9] // *= alpha
	;; [unrolled: 1-line block ×16, first 2 shown]

/* apply mask, calc new C and issue writes */
v_cvt_f16_f32 v[vgprValuC+7], v[vgprValuC+7]       // convert C to fp16
_buffer_store_b16 v7, v6, s[sgprSrdD:sgprSrdD+3], 0, offen, offset:0 // store D
v_cvt_f16_f32 v[vgprValuC+9], v[vgprValuC+9]       // convert C to fp16
_buffer_store_b16 v9, v8, s[sgprSrdD:sgprSrdD+3], 0, offen, offset:0 // store D
v_cvt_f16_f32 v[vgprValuC+11], v[vgprValuC+11]     // convert C to fp16
_buffer_store_b16 v11, v10, s[sgprSrdD:sgprSrdD+3], 0, offen, offset:0 // store D
v_cvt_f16_f32 v[vgprValuC+13], v[vgprValuC+13]     // convert C to fp16
	;; [unrolled: 2-line block ×14, first 2 shown]
_buffer_store_b16 v37, v36, s[sgprSrdD:sgprSrdD+3], 0, offen, offset:0 // store D
s_nop 0                                            // 1 wait state required when next inst writes vgprs held by previous dwordx4 store inst
/* optSingleColVgpr=0 optSharedColVgpr=0 optSGPRUsage=BufferLoad_Edge_Mask optSrdIncForRow=0 */
s_sleep 3 // optimization: sync and wait
s_barrier

/******************************************/
/* Global Write Alpha Edge Batch #3 (d1,d0,vc1,vc0) = */
/*    (1,0,4,0:vw1); (1,0,4,1:vw1); (1,0,4,2:vw1); (1,0,4,3:vw1); (1,0,5,0:vw1); (1,0,5,1:vw1); (1,0,5,2:vw1); (1,0,5,3:vw1); (1,0,6,0:vw1); (1,0,6,1:vw1); (1,0,6,2:vw1); (1,0,6,3:vw1); (1,0,7,0:vw1); (1,0,7,1:vw1); (1,0,7,2:vw1); (1,0,7,3:vw1) */
/******************************************/

/* calc coords, apply mask, and issue loads (if necessary) */
/* (d1,vc1,d0,vc0)=(1,4,0,0) */
_v_add_co_u32 v1, vcc, v1, 1                       // coord1.1: coord1Vgpr += d1*sg1*VW + vc1

/* Fix for UseInitialStridesCD, emitAddressSetupCode */
_v_add_u32 v2, v2, s[sgprStrideC1J]                // ROWINC- Move cinRowPtr to next row
_v_add_u32 v3, v3, s[sgprStrideD1J]                // Move coutRowPtr to next row
v_cmp_lt_u32 s[54:55], v0, s[sgprSizeI]            // coord0 < size0
v_cmp_lt_u32 s[58:59], v1, s[sgprSizeJ]            // coord1 < size1
s_and_b64 s[58:59], s[54:55], s[58:59]             // in0 && in1
_v_add_lshl_u32 v6, v3, v0, 0x1                    // scaleToBpe: accumulate d0 lower and *= bpe into Cin addr
v_cndmask_b32 v6, -1, v6, s[58:59]                 // LDD clip if OOB. offset
/* (d1,vc1,d0,vc0)=(1,4,0,1) */
_v_add_co_u32 v4, vcc, v0, 1                       // coord0.1: coord0 += d0*sg0*VW + vc0
v_cmp_lt_u32 s[54:55], v4, s[sgprSizeI]            // coord0 < size0
v_cmp_lt_u32 s[58:59], v1, s[sgprSizeJ]            // coord1 < size1
s_and_b64 s[58:59], s[54:55], s[58:59]             // in0 && in1
_v_add_lshl_u32 v8, v3, v4, 0x1                    // scaleToBpe: accumulate d0 lower and *= bpe into Cin addr
v_cndmask_b32 v8, -1, v8, s[58:59]                 // LDD clip if OOB. offset
/* (d1,vc1,d0,vc0)=(1,4,0,2) */
_v_add_co_u32 v4, vcc, v0, 2                       // coord0.1: coord0 += d0*sg0*VW + vc0
v_cmp_lt_u32 s[54:55], v4, s[sgprSizeI]            // coord0 < size0
v_cmp_lt_u32 s[58:59], v1, s[sgprSizeJ]            // coord1 < size1
s_and_b64 s[58:59], s[54:55], s[58:59]             // in0 && in1
_v_add_lshl_u32 v10, v3, v4, 0x1                   // scaleToBpe: accumulate d0 lower and *= bpe into Cin addr
v_cndmask_b32 v10, -1, v10, s[58:59]               // LDD clip if OOB. offset
/* (d1,vc1,d0,vc0)=(1,4,0,3) */
_v_add_co_u32 v4, vcc, v0, 3                       // coord0.1: coord0 += d0*sg0*VW + vc0
v_cmp_lt_u32 s[54:55], v4, s[sgprSizeI]            // coord0 < size0
v_cmp_lt_u32 s[58:59], v1, s[sgprSizeJ]            // coord1 < size1
s_and_b64 s[58:59], s[54:55], s[58:59]             // in0 && in1
_v_add_lshl_u32 v12, v3, v4, 0x1                   // scaleToBpe: accumulate d0 lower and *= bpe into Cin addr
v_cndmask_b32 v12, -1, v12, s[58:59]               // LDD clip if OOB. offset
/* (d1,vc1,d0,vc0)=(1,5,0,0) */
_v_add_co_u32 v1, vcc, v1, 1                       // coord1.1: coord1Vgpr += d1*sg1*VW + vc1

/* Fix for UseInitialStridesCD, emitAddressSetupCode */
_v_add_u32 v2, v2, s[sgprStrideC1J]                // ROWINC- Move cinRowPtr to next row
_v_add_u32 v3, v3, s[sgprStrideD1J]                // Move coutRowPtr to next row
v_cmp_lt_u32 s[54:55], v0, s[sgprSizeI]            // coord0 < size0
v_cmp_lt_u32 s[58:59], v1, s[sgprSizeJ]            // coord1 < size1
s_and_b64 s[58:59], s[54:55], s[58:59]             // in0 && in1
_v_add_lshl_u32 v14, v3, v0, 0x1                   // scaleToBpe: accumulate d0 lower and *= bpe into Cin addr
v_cndmask_b32 v14, -1, v14, s[58:59]               // LDD clip if OOB. offset
/* (d1,vc1,d0,vc0)=(1,5,0,1) */
_v_add_co_u32 v4, vcc, v0, 1                       // coord0.1: coord0 += d0*sg0*VW + vc0
v_cmp_lt_u32 s[54:55], v4, s[sgprSizeI]            // coord0 < size0
v_cmp_lt_u32 s[58:59], v1, s[sgprSizeJ]            // coord1 < size1
s_and_b64 s[58:59], s[54:55], s[58:59]             // in0 && in1
_v_add_lshl_u32 v16, v3, v4, 0x1                   // scaleToBpe: accumulate d0 lower and *= bpe into Cin addr
v_cndmask_b32 v16, -1, v16, s[58:59]               // LDD clip if OOB. offset
/* (d1,vc1,d0,vc0)=(1,5,0,2) */
_v_add_co_u32 v4, vcc, v0, 2                       // coord0.1: coord0 += d0*sg0*VW + vc0
v_cmp_lt_u32 s[54:55], v4, s[sgprSizeI]            // coord0 < size0
v_cmp_lt_u32 s[58:59], v1, s[sgprSizeJ]            // coord1 < size1
s_and_b64 s[58:59], s[54:55], s[58:59]             // in0 && in1
_v_add_lshl_u32 v18, v3, v4, 0x1                   // scaleToBpe: accumulate d0 lower and *= bpe into Cin addr
v_cndmask_b32 v18, -1, v18, s[58:59]               // LDD clip if OOB. offset
/* (d1,vc1,d0,vc0)=(1,5,0,3) */
_v_add_co_u32 v4, vcc, v0, 3                       // coord0.1: coord0 += d0*sg0*VW + vc0
v_cmp_lt_u32 s[54:55], v4, s[sgprSizeI]            // coord0 < size0
v_cmp_lt_u32 s[58:59], v1, s[sgprSizeJ]            // coord1 < size1
s_and_b64 s[58:59], s[54:55], s[58:59]             // in0 && in1
_v_add_lshl_u32 v20, v3, v4, 0x1                   // scaleToBpe: accumulate d0 lower and *= bpe into Cin addr
v_cndmask_b32 v20, -1, v20, s[58:59]               // LDD clip if OOB. offset
/* (d1,vc1,d0,vc0)=(1,6,0,0) */
_v_add_co_u32 v1, vcc, v1, 1                       // coord1.1: coord1Vgpr += d1*sg1*VW + vc1

/* Fix for UseInitialStridesCD, emitAddressSetupCode */
_v_add_u32 v2, v2, s[sgprStrideC1J]                // ROWINC- Move cinRowPtr to next row
_v_add_u32 v3, v3, s[sgprStrideD1J]                // Move coutRowPtr to next row
v_cmp_lt_u32 s[54:55], v0, s[sgprSizeI]            // coord0 < size0
v_cmp_lt_u32 s[58:59], v1, s[sgprSizeJ]            // coord1 < size1
s_and_b64 s[58:59], s[54:55], s[58:59]             // in0 && in1
_v_add_lshl_u32 v22, v3, v0, 0x1                   // scaleToBpe: accumulate d0 lower and *= bpe into Cin addr
v_cndmask_b32 v22, -1, v22, s[58:59]               // LDD clip if OOB. offset
/* (d1,vc1,d0,vc0)=(1,6,0,1) */
_v_add_co_u32 v4, vcc, v0, 1                       // coord0.1: coord0 += d0*sg0*VW + vc0
v_cmp_lt_u32 s[54:55], v4, s[sgprSizeI]            // coord0 < size0
v_cmp_lt_u32 s[58:59], v1, s[sgprSizeJ]            // coord1 < size1
s_and_b64 s[58:59], s[54:55], s[58:59]             // in0 && in1
_v_add_lshl_u32 v24, v3, v4, 0x1                   // scaleToBpe: accumulate d0 lower and *= bpe into Cin addr
v_cndmask_b32 v24, -1, v24, s[58:59]               // LDD clip if OOB. offset
	;; [unrolled: 32-line block ×3, first 2 shown]
/* (d1,vc1,d0,vc0)=(1,7,0,2) */
_v_add_co_u32 v4, vcc, v0, 2                       // coord0.1: coord0 += d0*sg0*VW + vc0
v_cmp_lt_u32 s[54:55], v4, s[sgprSizeI]            // coord0 < size0
v_cmp_lt_u32 s[58:59], v1, s[sgprSizeJ]            // coord1 < size1
s_and_b64 s[58:59], s[54:55], s[58:59]             // in0 && in1
_v_add_lshl_u32 v34, v3, v4, 0x1                   // scaleToBpe: accumulate d0 lower and *= bpe into Cin addr
v_cndmask_b32 v34, -1, v34, s[58:59]               // LDD clip if OOB. offset
/* (d1,vc1,d0,vc0)=(1,7,0,3) */
_v_add_co_u32 v4, vcc, v0, 3                       // coord0.1: coord0 += d0*sg0*VW + vc0
v_cmp_lt_u32 s[54:55], v4, s[sgprSizeI]            // coord0 < size0
v_cmp_lt_u32 s[58:59], v1, s[sgprSizeJ]            // coord1 < size1
s_and_b64 s[58:59], s[54:55], s[58:59]             // in0 && in1
_v_add_lshl_u32 v36, v3, v4, 0x1                   // scaleToBpe: accumulate d0 lower and *= bpe into Cin addr
v_cndmask_b32 v36, -1, v36, s[58:59]               // LDD clip if OOB. offset
v_accvgpr_read_b32 v[vgprValuC+7], acc34 // copy acc to vreg[48]
v_accvgpr_read_b32 v[vgprValuC+9], acc38 // copy acc to vreg[49]
v_accvgpr_read_b32 v[vgprValuC+11], acc42 // copy acc to vreg[50]
v_accvgpr_read_b32 v[vgprValuC+13], acc46 // copy acc to vreg[51]
v_accvgpr_read_b32 v[vgprValuC+15], acc50 // copy acc to vreg[52]
v_accvgpr_read_b32 v[vgprValuC+17], acc54 // copy acc to vreg[53]
v_accvgpr_read_b32 v[vgprValuC+19], acc58 // copy acc to vreg[54]
v_accvgpr_read_b32 v[vgprValuC+21], acc62 // copy acc to vreg[55]
v_accvgpr_read_b32 v[vgprValuC+23], acc35 // copy acc to vreg[56]
v_accvgpr_read_b32 v[vgprValuC+25], acc39 // copy acc to vreg[57]
v_accvgpr_read_b32 v[vgprValuC+27], acc43 // copy acc to vreg[58]
v_accvgpr_read_b32 v[vgprValuC+29], acc47 // copy acc to vreg[59]
v_accvgpr_read_b32 v[vgprValuC+31], acc51 // copy acc to vreg[60]
v_accvgpr_read_b32 v[vgprValuC+33], acc55 // copy acc to vreg[61]
v_accvgpr_read_b32 v[vgprValuC+35], acc59 // copy acc to vreg[62]
v_accvgpr_read_b32 v[vgprValuC+37], acc63 // copy acc to vreg[63]
s_nop 1                                            // 2 wait states required before reading vgpr

/* rC *= alpha batchElements=[(1, 0, 4, 0), (1, 0, 4, 1), (1, 0, 4, 2), (1, 0, 4, 3), (1, 0, 5, 0), (1, 0, 5, 1), (1, 0, 5, 2), (1, 0, 5, 3), (1, 0, 6, 0), (1, 0, 6, 1), (1, 0, 6, 2), (1, 0, 6, 3), (1, 0, 7, 0), (1, 0, 7, 1), (1, 0, 7, 2), (1, 0, 7, 3)] */
v_mul_f32 v[vgprValuC+7], s[sgprAlpha], v[vgprValuC+7] // *= alpha
v_mul_f32 v[vgprValuC+9], s[sgprAlpha], v[vgprValuC+9] // *= alpha
	;; [unrolled: 1-line block ×16, first 2 shown]

/* apply mask, calc new C and issue writes */
v_cvt_f16_f32 v[vgprValuC+7], v[vgprValuC+7]       // convert C to fp16
_buffer_store_b16 v7, v6, s[sgprSrdD:sgprSrdD+3], 0, offen, offset:0 // store D
v_cvt_f16_f32 v[vgprValuC+9], v[vgprValuC+9]       // convert C to fp16
_buffer_store_b16 v9, v8, s[sgprSrdD:sgprSrdD+3], 0, offen, offset:0 // store D
v_cvt_f16_f32 v[vgprValuC+11], v[vgprValuC+11]     // convert C to fp16
_buffer_store_b16 v11, v10, s[sgprSrdD:sgprSrdD+3], 0, offen, offset:0 // store D
v_cvt_f16_f32 v[vgprValuC+13], v[vgprValuC+13]     // convert C to fp16
_buffer_store_b16 v13, v12, s[sgprSrdD:sgprSrdD+3], 0, offen, offset:0 // store D
v_cvt_f16_f32 v[vgprValuC+15], v[vgprValuC+15]     // convert C to fp16
_buffer_store_b16 v15, v14, s[sgprSrdD:sgprSrdD+3], 0, offen, offset:0 // store D
v_cvt_f16_f32 v[vgprValuC+17], v[vgprValuC+17]     // convert C to fp16
_buffer_store_b16 v17, v16, s[sgprSrdD:sgprSrdD+3], 0, offen, offset:0 // store D
v_cvt_f16_f32 v[vgprValuC+19], v[vgprValuC+19]     // convert C to fp16
_buffer_store_b16 v19, v18, s[sgprSrdD:sgprSrdD+3], 0, offen, offset:0 // store D
v_cvt_f16_f32 v[vgprValuC+21], v[vgprValuC+21]     // convert C to fp16
_buffer_store_b16 v21, v20, s[sgprSrdD:sgprSrdD+3], 0, offen, offset:0 // store D
v_cvt_f16_f32 v[vgprValuC+23], v[vgprValuC+23]     // convert C to fp16
_buffer_store_b16 v23, v22, s[sgprSrdD:sgprSrdD+3], 0, offen, offset:0 // store D
v_cvt_f16_f32 v[vgprValuC+25], v[vgprValuC+25]     // convert C to fp16
_buffer_store_b16 v25, v24, s[sgprSrdD:sgprSrdD+3], 0, offen, offset:0 // store D
v_cvt_f16_f32 v[vgprValuC+27], v[vgprValuC+27]     // convert C to fp16
_buffer_store_b16 v27, v26, s[sgprSrdD:sgprSrdD+3], 0, offen, offset:0 // store D
v_cvt_f16_f32 v[vgprValuC+29], v[vgprValuC+29]     // convert C to fp16
_buffer_store_b16 v29, v28, s[sgprSrdD:sgprSrdD+3], 0, offen, offset:0 // store D
v_cvt_f16_f32 v[vgprValuC+31], v[vgprValuC+31]     // convert C to fp16
_buffer_store_b16 v31, v30, s[sgprSrdD:sgprSrdD+3], 0, offen, offset:0 // store D
v_cvt_f16_f32 v[vgprValuC+33], v[vgprValuC+33]     // convert C to fp16
_buffer_store_b16 v33, v32, s[sgprSrdD:sgprSrdD+3], 0, offen, offset:0 // store D
v_cvt_f16_f32 v[vgprValuC+35], v[vgprValuC+35]     // convert C to fp16
_buffer_store_b16 v35, v34, s[sgprSrdD:sgprSrdD+3], 0, offen, offset:0 // store D
v_cvt_f16_f32 v[vgprValuC+37], v[vgprValuC+37]     // convert C to fp16
_buffer_store_b16 v37, v36, s[sgprSrdD:sgprSrdD+3], 0, offen, offset:0 // store D
s_nop 0                                            // 1 wait state required when next inst writes vgprs held by previous dwordx4 store inst
s_branch label_GW_End_108                          // jump to end
GW_Beta_109:
s_and_b32 s54, 127, s[sgprSizeI]                   // s54 = s[sgprSizeI] % 128
s_add_u32 s55, -0x1, s[sgprNumWorkGroups0]         // 
s_cmp_ge_u32 s[sgprWorkGroup0], s55                // wg0 >= nwg0-1 ?
s_cselect_b32 s54, s54, 0                          // set rMT0
s_cmpk_gt_u32 s54, 0x0                             // rMT0 > 0
s_cbranch_scc1 GW_B1_E1_107                        // jump if edges required
s_and_b32 s54, 127, s[sgprSizeJ]                   // s54 = s[sgprSizeJ] % 128
s_add_u32 s55, -0x1, s[sgprNumWorkGroups1]         // 
s_cmp_ge_u32 s[sgprWorkGroup1], s55                // wg1 >= nwg1-1
s_cselect_b32 s54, s54, 0                          // set rMT1
s_cmpk_gt_u32 s54, 0x0                             // rMT1 > 0
s_cbranch_scc1 GW_B1_E1_107                        // jump if edges required
GW_B1_E0_104:

/* edge=0, allocate 2 sgpr. perBatchTmpS=2 perBatchMaskS=0 perElementMaskS=0 elementsPerBatch=16 */
/* optSingleColVgpr=1 optSharedColVgpr=0 optSGPRUsage=BufferLoad_Mask optSrdIncForRow=1 */
s_sleep 3 // optimization: sync and wait
s_barrier

/******************************************/
/* Global Write Alpha Beta Batch #0 (d1,d0,vc1,vc0) = */
/*    (0,0,0,0:vw4); (0,0,1,0:vw4); (0,0,2,0:vw4); (0,0,3,0:vw4); (0,0,4,0:vw4); (0,0,5,0:vw4); (0,0,6,0:vw4); (0,0,7,0:vw4); (1,0,0,0:vw4); (1,0,1,0:vw4); (1,0,2,0:vw4); (1,0,3,0:vw4); (1,0,4,0:vw4); (1,0,5,0:vw4); (1,0,6,0:vw4); (1,0,7,0:vw4) */
/******************************************/

/* calc coords, apply mask, and issue loads (if necessary) */
/* (d1,vc1,d0,vc0)=(0,0,0,0) */
_v_add_lshl_u32 v7, v2, v0, 0x1                    // optSingleColVgpr scaleToBpe: sharedAddrVgpr <- cinRowPtr + coord0, scaled by BPE. BSHERE:coord0=0, coord0Vgpr=0
_buffer_load_b64 v[8:9], v7, s[sgprSrdC:sgprSrdC+3], 0, offen offset:0 // load C for beta calc
/* (d1,vc1,d0,vc0)=(0,1,0,0) */
s_lshl_b32  s54, s[sgprStrideC1J], 1               // incToNextRow: Scale by BPE
s_add_u32  s[sgprSrdC+0], s[sgprSrdC+0], s54       // incToNextRow: gra SRD += inc(lower)
s_addc_u32  s[sgprSrdC+1], s[sgprSrdC+1], 0        // incToNextRow: gra SRD += inc(upper)
_buffer_load_b64 v[10:11], v7, s[sgprSrdC:sgprSrdC+3], 0, offen offset:0 // load C for beta calc
/* (d1,vc1,d0,vc0)=(0,2,0,0) */
s_lshl_b32  s54, s[sgprStrideC1J], 1               // incToNextRow: Scale by BPE
s_add_u32  s[sgprSrdC+0], s[sgprSrdC+0], s54       // incToNextRow: gra SRD += inc(lower)
s_addc_u32  s[sgprSrdC+1], s[sgprSrdC+1], 0        // incToNextRow: gra SRD += inc(upper)
	;; [unrolled: 5-line block ×7, first 2 shown]
_buffer_load_b64 v[46:47], v7, s[sgprSrdC:sgprSrdC+3], 0, offen offset:0 // load C for beta calc
/* (d1,vc1,d0,vc0)=(1,0,0,0) */
s_mul_i32 s54, s[sgprStrideC1J], 114               // scale StrideC *= numRows(57) * bpe
s_add_u32  s[sgprSrdC+0], s[sgprSrdC+0], s54       // incToNextRow: gra SRD += inc(lower)
s_addc_u32  s[sgprSrdC+1], s[sgprSrdC+1], 0        // incToNextRow: gra SRD += inc(upper)
_buffer_load_b64 v[56:57], v7, s[sgprSrdC:sgprSrdC+3], 0, offen offset:0 // load C for beta calc
/* (d1,vc1,d0,vc0)=(1,1,0,0) */
s_lshl_b32  s54, s[sgprStrideC1J], 1               // incToNextRow: Scale by BPE
s_add_u32  s[sgprSrdC+0], s[sgprSrdC+0], s54       // incToNextRow: gra SRD += inc(lower)
s_addc_u32  s[sgprSrdC+1], s[sgprSrdC+1], 0        // incToNextRow: gra SRD += inc(upper)
_buffer_load_b64 v[58:59], v7, s[sgprSrdC:sgprSrdC+3], 0, offen offset:0 // load C for beta calc
/* (d1,vc1,d0,vc0)=(1,2,0,0) */
s_lshl_b32  s54, s[sgprStrideC1J], 1               // incToNextRow: Scale by BPE
	;; [unrolled: 5-line block ×7, first 2 shown]
s_add_u32  s[sgprSrdC+0], s[sgprSrdC+0], s54       // incToNextRow: gra SRD += inc(lower)
s_addc_u32  s[sgprSrdC+1], s[sgprSrdC+1], 0        // incToNextRow: gra SRD += inc(upper)
_buffer_load_b64 v[98:99], v7, s[sgprSrdC:sgprSrdC+3], 0, offen offset:0 // load C for beta calc
_v_add_lshl_u32 v6, v3, v0, 0x1                    // optSingleColVgpr scaleToBpe: sharedAddrVgpr <- cinRowPtr + coord0, scaled by BPE. BSHERE:coord0=0, coord0Vgpr=0
s_sleep 3 // optimization: sync and wait
s_barrier
v_accvgpr_read_b32 v[vgprValuC+12], acc0 // copy acc to vreg[0]
v_accvgpr_read_b32 v[vgprValuC+13], acc4 // copy acc to vreg[1]
v_accvgpr_read_b32 v[vgprValuC+14], acc8 // copy acc to vreg[2]
v_accvgpr_read_b32 v[vgprValuC+15], acc12 // copy acc to vreg[3]
v_accvgpr_read_b32 v[vgprValuC+16], acc16 // copy acc to vreg[4]
v_accvgpr_read_b32 v[vgprValuC+17], acc20 // copy acc to vreg[5]
v_accvgpr_read_b32 v[vgprValuC+18], acc24 // copy acc to vreg[6]
v_accvgpr_read_b32 v[vgprValuC+19], acc28 // copy acc to vreg[7]
v_accvgpr_read_b32 v[vgprValuC+24], acc1 // copy acc to vreg[8]
v_accvgpr_read_b32 v[vgprValuC+25], acc5 // copy acc to vreg[9]
v_accvgpr_read_b32 v[vgprValuC+26], acc9 // copy acc to vreg[10]
v_accvgpr_read_b32 v[vgprValuC+27], acc13 // copy acc to vreg[11]
v_accvgpr_read_b32 v[vgprValuC+28], acc17 // copy acc to vreg[12]
v_accvgpr_read_b32 v[vgprValuC+29], acc21 // copy acc to vreg[13]
v_accvgpr_read_b32 v[vgprValuC+30], acc25 // copy acc to vreg[14]
v_accvgpr_read_b32 v[vgprValuC+31], acc29 // copy acc to vreg[15]
v_accvgpr_read_b32 v[vgprValuC+36], acc2 // copy acc to vreg[16]
v_accvgpr_read_b32 v[vgprValuC+37], acc6 // copy acc to vreg[17]
v_accvgpr_read_b32 v[vgprValuC+38], acc10 // copy acc to vreg[18]
v_accvgpr_read_b32 v[vgprValuC+39], acc14 // copy acc to vreg[19]
v_accvgpr_read_b32 v[vgprValuC+40], acc18 // copy acc to vreg[20]
v_accvgpr_read_b32 v[vgprValuC+41], acc22 // copy acc to vreg[21]
v_accvgpr_read_b32 v[vgprValuC+42], acc26 // copy acc to vreg[22]
v_accvgpr_read_b32 v[vgprValuC+43], acc30 // copy acc to vreg[23]
v_accvgpr_read_b32 v[vgprValuC+48], acc3 // copy acc to vreg[24]
v_accvgpr_read_b32 v[vgprValuC+49], acc7 // copy acc to vreg[25]
v_accvgpr_read_b32 v[vgprValuC+50], acc11 // copy acc to vreg[26]
v_accvgpr_read_b32 v[vgprValuC+51], acc15 // copy acc to vreg[27]
v_accvgpr_read_b32 v[vgprValuC+52], acc19 // copy acc to vreg[28]
v_accvgpr_read_b32 v[vgprValuC+53], acc23 // copy acc to vreg[29]
v_accvgpr_read_b32 v[vgprValuC+54], acc27 // copy acc to vreg[30]
v_accvgpr_read_b32 v[vgprValuC+55], acc31 // copy acc to vreg[31]
v_accvgpr_read_b32 v[vgprValuC+60], acc32 // copy acc to vreg[32]
v_accvgpr_read_b32 v[vgprValuC+61], acc36 // copy acc to vreg[33]
v_accvgpr_read_b32 v[vgprValuC+62], acc40 // copy acc to vreg[34]
v_accvgpr_read_b32 v[vgprValuC+63], acc44 // copy acc to vreg[35]
v_accvgpr_read_b32 v[vgprValuC+64], acc48 // copy acc to vreg[36]
v_accvgpr_read_b32 v[vgprValuC+65], acc52 // copy acc to vreg[37]
v_accvgpr_read_b32 v[vgprValuC+66], acc56 // copy acc to vreg[38]
v_accvgpr_read_b32 v[vgprValuC+67], acc60 // copy acc to vreg[39]
v_accvgpr_read_b32 v[vgprValuC+76], acc33 // copy acc to vreg[40]
v_accvgpr_read_b32 v[vgprValuC+77], acc37 // copy acc to vreg[41]
v_accvgpr_read_b32 v[vgprValuC+78], acc41 // copy acc to vreg[42]
v_accvgpr_read_b32 v[vgprValuC+79], acc45 // copy acc to vreg[43]
v_accvgpr_read_b32 v[vgprValuC+80], acc49 // copy acc to vreg[44]
v_accvgpr_read_b32 v[vgprValuC+81], acc53 // copy acc to vreg[45]
v_accvgpr_read_b32 v[vgprValuC+82], acc57 // copy acc to vreg[46]
v_accvgpr_read_b32 v[vgprValuC+83], acc61 // copy acc to vreg[47]
v_accvgpr_read_b32 v[vgprValuC+88], acc34 // copy acc to vreg[48]
v_accvgpr_read_b32 v[vgprValuC+89], acc38 // copy acc to vreg[49]
v_accvgpr_read_b32 v[vgprValuC+90], acc42 // copy acc to vreg[50]
v_accvgpr_read_b32 v[vgprValuC+91], acc46 // copy acc to vreg[51]
v_accvgpr_read_b32 v[vgprValuC+92], acc50 // copy acc to vreg[52]
v_accvgpr_read_b32 v[vgprValuC+93], acc54 // copy acc to vreg[53]
v_accvgpr_read_b32 v[vgprValuC+94], acc58 // copy acc to vreg[54]
v_accvgpr_read_b32 v[vgprValuC+95], acc62 // copy acc to vreg[55]
v_accvgpr_read_b32 v[vgprValuC+100], acc35 // copy acc to vreg[56]
v_accvgpr_read_b32 v[vgprValuC+101], acc39 // copy acc to vreg[57]
v_accvgpr_read_b32 v[vgprValuC+102], acc43 // copy acc to vreg[58]
v_accvgpr_read_b32 v[vgprValuC+103], acc47 // copy acc to vreg[59]
v_accvgpr_read_b32 v[vgprValuC+104], acc51 // copy acc to vreg[60]
v_accvgpr_read_b32 v[vgprValuC+105], acc55 // copy acc to vreg[61]
v_accvgpr_read_b32 v[vgprValuC+106], acc59 // copy acc to vreg[62]
v_accvgpr_read_b32 v[vgprValuC+107], acc63 // copy acc to vreg[63]
s_nop 1                                            // 2 wait states required before reading vgpr

/* rC *= alpha batchElements=[(0, 0, 0, 0), (0, 0, 1, 0), (0, 0, 2, 0), (0, 0, 3, 0), (0, 0, 4, 0), (0, 0, 5, 0), (0, 0, 6, 0), (0, 0, 7, 0), (1, 0, 0, 0), (1, 0, 1, 0), (1, 0, 2, 0), (1, 0, 3, 0), (1, 0, 4, 0), (1, 0, 5, 0), (1, 0, 6, 0), (1, 0, 7, 0)] */
v_mul_f32 v[vgprValuC+12], s[sgprAlpha], v[vgprValuC+12] // *= alpha
v_mul_f32 v[vgprValuC+13], s[sgprAlpha], v[vgprValuC+13] // *= alpha
	;; [unrolled: 1-line block ×64, first 2 shown]

/* apply mask, calc new C and issue writes */

s_waitcnt vmcnt(15)                                // wait C (interleaved) 15 = 16 - 0 + 0 - 1
v_fma_mix_f32 v[vgprValuC+12], s[sgprBeta], v8, v[vgprValuC+12], op_sel:[0,0,0] op_sel_hi:[0,1,0] // //C*=beta
v_fma_mix_f32 v[vgprValuC+13], s[sgprBeta], v8, v[vgprValuC+13], op_sel:[0,1,0] op_sel_hi:[0,1,0] // //C*=beta
	;; [unrolled: 1-line block ×4, first 2 shown]
v_cvt_f16_f32 v[vgprValuC+12], v[vgprValuC+12]     // convert C to fp16
v_cvt_f16_f32 v[vgprValuC+13], v[vgprValuC+13]     // convert C to fp16
v_pack_b32_f16 v12, v[vgprValuC+12], v[vgprValuC+13] // Pack with neighbor
v_cvt_f16_f32 v[vgprValuC+14], v[vgprValuC+14]     // convert C to fp16
v_cvt_f16_f32 v[vgprValuC+15], v[vgprValuC+15]     // convert C to fp16
v_pack_b32_f16 v13, v[vgprValuC+14], v[vgprValuC+15] // Pack with neighbor
_buffer_store_b64 v[12:13], v6, s[sgprSrdD:sgprSrdD+3], 0, offen, offset:0 // store D

s_waitcnt vmcnt(15)                                // wait C (interleaved) 15 = 16 - 1 + 1 - 1
v_fma_mix_f32 v[vgprValuC+16], s[sgprBeta], v10, v[vgprValuC+16], op_sel:[0,0,0] op_sel_hi:[0,1,0] // //C*=beta
v_fma_mix_f32 v[vgprValuC+17], s[sgprBeta], v10, v[vgprValuC+17], op_sel:[0,1,0] op_sel_hi:[0,1,0] // //C*=beta
v_fma_mix_f32 v[vgprValuC+18], s[sgprBeta], v11, v[vgprValuC+18], op_sel:[0,0,0] op_sel_hi:[0,1,0] // //C*=beta
v_fma_mix_f32 v[vgprValuC+19], s[sgprBeta], v11, v[vgprValuC+19], op_sel:[0,1,0] op_sel_hi:[0,1,0] // //C*=beta
v_cvt_f16_f32 v[vgprValuC+16], v[vgprValuC+16]     // convert C to fp16
v_cvt_f16_f32 v[vgprValuC+17], v[vgprValuC+17]     // convert C to fp16
v_pack_b32_f16 v16, v[vgprValuC+16], v[vgprValuC+17] // Pack with neighbor
v_cvt_f16_f32 v[vgprValuC+18], v[vgprValuC+18]     // convert C to fp16
v_cvt_f16_f32 v[vgprValuC+19], v[vgprValuC+19]     // convert C to fp16
v_pack_b32_f16 v17, v[vgprValuC+18], v[vgprValuC+19] // Pack with neighbor
s_lshl_b32  s54, s[sgprStrideD1J], 1               // incToNextRow: Scale by BPE
s_add_u32  s[sgprSrdD+0], s[sgprSrdD+0], s54       // incToNextRow: gra SRD += inc(lower)
s_addc_u32  s[sgprSrdD+1], s[sgprSrdD+1], 0        // incToNextRow: gra SRD += inc(upper)
_buffer_store_b64 v[16:17], v6, s[sgprSrdD:sgprSrdD+3], 0, offen, offset:0 // store D

s_waitcnt vmcnt(15)                                // wait C (interleaved) 15 = 16 - 2 + 2 - 1
v_fma_mix_f32 v[vgprValuC+24], s[sgprBeta], v20, v[vgprValuC+24], op_sel:[0,0,0] op_sel_hi:[0,1,0] // //C*=beta
v_fma_mix_f32 v[vgprValuC+25], s[sgprBeta], v20, v[vgprValuC+25], op_sel:[0,1,0] op_sel_hi:[0,1,0] // //C*=beta
v_fma_mix_f32 v[vgprValuC+26], s[sgprBeta], v21, v[vgprValuC+26], op_sel:[0,0,0] op_sel_hi:[0,1,0] // //C*=beta
v_fma_mix_f32 v[vgprValuC+27], s[sgprBeta], v21, v[vgprValuC+27], op_sel:[0,1,0] op_sel_hi:[0,1,0] // //C*=beta
v_cvt_f16_f32 v[vgprValuC+24], v[vgprValuC+24]     // convert C to fp16
v_cvt_f16_f32 v[vgprValuC+25], v[vgprValuC+25]     // convert C to fp16
v_pack_b32_f16 v24, v[vgprValuC+24], v[vgprValuC+25] // Pack with neighbor
v_cvt_f16_f32 v[vgprValuC+26], v[vgprValuC+26]     // convert C to fp16
v_cvt_f16_f32 v[vgprValuC+27], v[vgprValuC+27]     // convert C to fp16
v_pack_b32_f16 v25, v[vgprValuC+26], v[vgprValuC+27] // Pack with neighbor
s_lshl_b32  s54, s[sgprStrideD1J], 1               // incToNextRow: Scale by BPE
s_add_u32  s[sgprSrdD+0], s[sgprSrdD+0], s54       // incToNextRow: gra SRD += inc(lower)
s_addc_u32  s[sgprSrdD+1], s[sgprSrdD+1], 0        // incToNextRow: gra SRD += inc(upper)
	;; [unrolled: 16-line block ×7, first 2 shown]
_buffer_store_b64 v[52:53], v6, s[sgprSrdD:sgprSrdD+3], 0, offen, offset:0 // store D

s_waitcnt vmcnt(15)                                // wait C (interleaved) 15 = 16 - 8 + 8 - 1
v_fma_mix_f32 v[vgprValuC+60], s[sgprBeta], v56, v[vgprValuC+60], op_sel:[0,0,0] op_sel_hi:[0,1,0] // //C*=beta
v_fma_mix_f32 v[vgprValuC+61], s[sgprBeta], v56, v[vgprValuC+61], op_sel:[0,1,0] op_sel_hi:[0,1,0] // //C*=beta
	;; [unrolled: 1-line block ×4, first 2 shown]
v_cvt_f16_f32 v[vgprValuC+60], v[vgprValuC+60]     // convert C to fp16
v_cvt_f16_f32 v[vgprValuC+61], v[vgprValuC+61]     // convert C to fp16
v_pack_b32_f16 v60, v[vgprValuC+60], v[vgprValuC+61] // Pack with neighbor
v_cvt_f16_f32 v[vgprValuC+62], v[vgprValuC+62]     // convert C to fp16
v_cvt_f16_f32 v[vgprValuC+63], v[vgprValuC+63]     // convert C to fp16
v_pack_b32_f16 v61, v[vgprValuC+62], v[vgprValuC+63] // Pack with neighbor
s_mul_i32 s54, s[sgprStrideD1J], 114               // scale StrideD *= numRows(57) * bpe
s_add_u32  s[sgprSrdD+0], s[sgprSrdD+0], s54       // incToNextRow: gra SRD += inc(lower)
s_addc_u32  s[sgprSrdD+1], s[sgprSrdD+1], 0        // incToNextRow: gra SRD += inc(upper)
_buffer_store_b64 v[60:61], v6, s[sgprSrdD:sgprSrdD+3], 0, offen, offset:0 // store D

s_waitcnt vmcnt(15)                                // wait C (interleaved) 15 = 16 - 9 + 9 - 1
v_fma_mix_f32 v[vgprValuC+64], s[sgprBeta], v58, v[vgprValuC+64], op_sel:[0,0,0] op_sel_hi:[0,1,0] // //C*=beta
v_fma_mix_f32 v[vgprValuC+65], s[sgprBeta], v58, v[vgprValuC+65], op_sel:[0,1,0] op_sel_hi:[0,1,0] // //C*=beta
v_fma_mix_f32 v[vgprValuC+66], s[sgprBeta], v59, v[vgprValuC+66], op_sel:[0,0,0] op_sel_hi:[0,1,0] // //C*=beta
v_fma_mix_f32 v[vgprValuC+67], s[sgprBeta], v59, v[vgprValuC+67], op_sel:[0,1,0] op_sel_hi:[0,1,0] // //C*=beta
v_cvt_f16_f32 v[vgprValuC+64], v[vgprValuC+64]     // convert C to fp16
v_cvt_f16_f32 v[vgprValuC+65], v[vgprValuC+65]     // convert C to fp16
v_pack_b32_f16 v64, v[vgprValuC+64], v[vgprValuC+65] // Pack with neighbor
v_cvt_f16_f32 v[vgprValuC+66], v[vgprValuC+66]     // convert C to fp16
v_cvt_f16_f32 v[vgprValuC+67], v[vgprValuC+67]     // convert C to fp16
v_pack_b32_f16 v65, v[vgprValuC+66], v[vgprValuC+67] // Pack with neighbor
s_lshl_b32  s54, s[sgprStrideD1J], 1               // incToNextRow: Scale by BPE
s_add_u32  s[sgprSrdD+0], s[sgprSrdD+0], s54       // incToNextRow: gra SRD += inc(lower)
s_addc_u32  s[sgprSrdD+1], s[sgprSrdD+1], 0        // incToNextRow: gra SRD += inc(upper)
_buffer_store_b64 v[64:65], v6, s[sgprSrdD:sgprSrdD+3], 0, offen, offset:0 // store D

s_waitcnt vmcnt(15)                                // wait C (interleaved) 15 = 16 - 10 + 10 - 1
v_fma_mix_f32 v[vgprValuC+76], s[sgprBeta], v68, v[vgprValuC+76], op_sel:[0,0,0] op_sel_hi:[0,1,0] // //C*=beta
v_fma_mix_f32 v[vgprValuC+77], s[sgprBeta], v68, v[vgprValuC+77], op_sel:[0,1,0] op_sel_hi:[0,1,0] // //C*=beta
v_fma_mix_f32 v[vgprValuC+78], s[sgprBeta], v69, v[vgprValuC+78], op_sel:[0,0,0] op_sel_hi:[0,1,0] // //C*=beta
v_fma_mix_f32 v[vgprValuC+79], s[sgprBeta], v69, v[vgprValuC+79], op_sel:[0,1,0] op_sel_hi:[0,1,0] // //C*=beta
v_cvt_f16_f32 v[vgprValuC+76], v[vgprValuC+76]     // convert C to fp16
v_cvt_f16_f32 v[vgprValuC+77], v[vgprValuC+77]     // convert C to fp16
v_pack_b32_f16 v76, v[vgprValuC+76], v[vgprValuC+77] // Pack with neighbor
v_cvt_f16_f32 v[vgprValuC+78], v[vgprValuC+78]     // convert C to fp16
v_cvt_f16_f32 v[vgprValuC+79], v[vgprValuC+79]     // convert C to fp16
v_pack_b32_f16 v77, v[vgprValuC+78], v[vgprValuC+79] // Pack with neighbor
s_lshl_b32  s54, s[sgprStrideD1J], 1               // incToNextRow: Scale by BPE
	;; [unrolled: 16-line block ×5, first 2 shown]
s_add_u32  s[sgprSrdD+0], s[sgprSrdD+0], s54       // incToNextRow: gra SRD += inc(lower)
s_addc_u32  s[sgprSrdD+1], s[sgprSrdD+1], 0        // incToNextRow: gra SRD += inc(upper)
_buffer_store_b64 v[92:93], v6, s[sgprSrdD:sgprSrdD+3], 0, offen, offset:0 // store D

s_waitcnt vmcnt(15)                                // wait C (interleaved) 15 = 16 - 14 + 14 - 1
v_fma_mix_f32 v[vgprValuC+100], s[sgprBeta], v96, v[vgprValuC+100], op_sel:[0,0,0] op_sel_hi:[0,1,0] // //C*=beta
v_fma_mix_f32 v[vgprValuC+101], s[sgprBeta], v96, v[vgprValuC+101], op_sel:[0,1,0] op_sel_hi:[0,1,0] // //C*=beta
	;; [unrolled: 1-line block ×4, first 2 shown]
v_cvt_f16_f32 v[vgprValuC+100], v[vgprValuC+100]   // convert C to fp16
v_cvt_f16_f32 v[vgprValuC+101], v[vgprValuC+101]   // convert C to fp16
v_pack_b32_f16 v100, v[vgprValuC+100], v[vgprValuC+101] // Pack with neighbor
v_cvt_f16_f32 v[vgprValuC+102], v[vgprValuC+102]   // convert C to fp16
v_cvt_f16_f32 v[vgprValuC+103], v[vgprValuC+103]   // convert C to fp16
v_pack_b32_f16 v101, v[vgprValuC+102], v[vgprValuC+103] // Pack with neighbor
s_lshl_b32  s54, s[sgprStrideD1J], 1               // incToNextRow: Scale by BPE
s_add_u32  s[sgprSrdD+0], s[sgprSrdD+0], s54       // incToNextRow: gra SRD += inc(lower)
s_addc_u32  s[sgprSrdD+1], s[sgprSrdD+1], 0        // incToNextRow: gra SRD += inc(upper)
_buffer_store_b64 v[100:101], v6, s[sgprSrdD:sgprSrdD+3], 0, offen, offset:0 // store D

s_waitcnt vmcnt(15)                                // wait C (interleaved) 15 = 16 - 15 + 15 - 1
v_fma_mix_f32 v[vgprValuC+104], s[sgprBeta], v98, v[vgprValuC+104], op_sel:[0,0,0] op_sel_hi:[0,1,0] // //C*=beta
v_fma_mix_f32 v[vgprValuC+105], s[sgprBeta], v98, v[vgprValuC+105], op_sel:[0,1,0] op_sel_hi:[0,1,0] // //C*=beta
v_fma_mix_f32 v[vgprValuC+106], s[sgprBeta], v99, v[vgprValuC+106], op_sel:[0,0,0] op_sel_hi:[0,1,0] // //C*=beta
v_fma_mix_f32 v[vgprValuC+107], s[sgprBeta], v99, v[vgprValuC+107], op_sel:[0,1,0] op_sel_hi:[0,1,0] // //C*=beta
v_cvt_f16_f32 v[vgprValuC+104], v[vgprValuC+104]   // convert C to fp16
v_cvt_f16_f32 v[vgprValuC+105], v[vgprValuC+105]   // convert C to fp16
v_pack_b32_f16 v104, v[vgprValuC+104], v[vgprValuC+105] // Pack with neighbor
v_cvt_f16_f32 v[vgprValuC+106], v[vgprValuC+106]   // convert C to fp16
v_cvt_f16_f32 v[vgprValuC+107], v[vgprValuC+107]   // convert C to fp16
v_pack_b32_f16 v105, v[vgprValuC+106], v[vgprValuC+107] // Pack with neighbor
s_lshl_b32  s54, s[sgprStrideD1J], 1               // incToNextRow: Scale by BPE
s_add_u32  s[sgprSrdD+0], s[sgprSrdD+0], s54       // incToNextRow: gra SRD += inc(lower)
s_addc_u32  s[sgprSrdD+1], s[sgprSrdD+1], 0        // incToNextRow: gra SRD += inc(upper)
_buffer_store_b64 v[104:105], v6, s[sgprSrdD:sgprSrdD+3], 0, offen, offset:0 // store D
s_nop 0                                            // 1 wait state required when next inst writes vgprs held by previous dwordx4 store inst
s_branch label_GW_End_108                          // jump to end
GW_B1_E1_107:

/* edge=1, allocate 6 sgpr. perBatchTmpS=4 perBatchMaskS=2 perElementMaskS=0 elementsPerBatch=16 */
/* optSingleColVgpr=0 optSharedColVgpr=0 optSGPRUsage=BufferLoad_Edge_Mask optSrdIncForRow=0 */
s_sleep 3 // optimization: sync and wait
s_barrier

/******************************************/
/* Global Write Alpha Beta Edge Batch #0 (d1,d0,vc1,vc0) = */
/*    (0,0,0,0:vw1); (0,0,0,1:vw1); (0,0,0,2:vw1); (0,0,0,3:vw1); (0,0,1,0:vw1); (0,0,1,1:vw1); (0,0,1,2:vw1); (0,0,1,3:vw1); (0,0,2,0:vw1); (0,0,2,1:vw1); (0,0,2,2:vw1); (0,0,2,3:vw1); (0,0,3,0:vw1); (0,0,3,1:vw1); (0,0,3,2:vw1); (0,0,3,3:vw1) */
/******************************************/

/* calc coords, apply mask, and issue loads (if necessary) */
/* (d1,vc1,d0,vc0)=(0,0,0,0) */
v_cmp_lt_u32 s[54:55], v0, s[sgprSizeI]            // coord0 < size0
v_cmp_lt_u32 s[58:59], v1, s[sgprSizeJ]            // coord1 < size1
s_and_b64 s[58:59], s[54:55], s[58:59]             // in0 && in1
_v_add_lshl_u32 v6, v2, v0, 0x1                    // scaleToBpe: accumulate d0 lower and *= bpe into Cin addr
v_cndmask_b32 v6, -1, v6, s[58:59]                 // LDC clip if OOB. offset
_buffer_load_d16_b16 v7, v6, s[sgprSrdC:sgprSrdC+3], 0, offen offset:0 // load C for beta calc
_v_add_lshl_u32 v6, v3, v0, 0x1                    // scaleToBpe: accumulate d0 lower and *= bpe into Cin addr
v_cndmask_b32 v6, -1, v6, s[58:59]                 // LDD clip if OOB. offset
/* (d1,vc1,d0,vc0)=(0,0,0,1) */
_v_add_co_u32 v4, vcc, v0, 1                       // coord0.1: coord0 += d0*sg0*VW + vc0
v_cmp_lt_u32 s[54:55], v4, s[sgprSizeI]            // coord0 < size0
v_cmp_lt_u32 s[58:59], v1, s[sgprSizeJ]            // coord1 < size1
s_and_b64 s[58:59], s[54:55], s[58:59]             // in0 && in1
_v_add_lshl_u32 v9, v2, v4, 0x1                    // scaleToBpe: accumulate d0 lower and *= bpe into Cin addr
v_cndmask_b32 v9, -1, v9, s[58:59]                 // LDC clip if OOB. offset
_buffer_load_d16_hi_b16 v10, v9, s[sgprSrdC:sgprSrdC+3], 0, offen offset:0 // load C for beta calc
_v_add_lshl_u32 v9, v3, v4, 0x1                    // scaleToBpe: accumulate d0 lower and *= bpe into Cin addr
v_cndmask_b32 v9, -1, v9, s[58:59]                 // LDD clip if OOB. offset
/* (d1,vc1,d0,vc0)=(0,0,0,2) */
_v_add_co_u32 v4, vcc, v0, 2                       // coord0.1: coord0 += d0*sg0*VW + vc0
v_cmp_lt_u32 s[54:55], v4, s[sgprSizeI]            // coord0 < size0
v_cmp_lt_u32 s[58:59], v1, s[sgprSizeJ]            // coord1 < size1
s_and_b64 s[58:59], s[54:55], s[58:59]             // in0 && in1
_v_add_lshl_u32 v12, v2, v4, 0x1                   // scaleToBpe: accumulate d0 lower and *= bpe into Cin addr
v_cndmask_b32 v12, -1, v12, s[58:59]               // LDC clip if OOB. offset
_buffer_load_d16_b16 v13, v12, s[sgprSrdC:sgprSrdC+3], 0, offen offset:0 // load C for beta calc
_v_add_lshl_u32 v12, v3, v4, 0x1                   // scaleToBpe: accumulate d0 lower and *= bpe into Cin addr
v_cndmask_b32 v12, -1, v12, s[58:59]               // LDD clip if OOB. offset
/* (d1,vc1,d0,vc0)=(0,0,0,3) */
_v_add_co_u32 v4, vcc, v0, 3                       // coord0.1: coord0 += d0*sg0*VW + vc0
v_cmp_lt_u32 s[54:55], v4, s[sgprSizeI]            // coord0 < size0
v_cmp_lt_u32 s[58:59], v1, s[sgprSizeJ]            // coord1 < size1
s_and_b64 s[58:59], s[54:55], s[58:59]             // in0 && in1
_v_add_lshl_u32 v15, v2, v4, 0x1                   // scaleToBpe: accumulate d0 lower and *= bpe into Cin addr
v_cndmask_b32 v15, -1, v15, s[58:59]               // LDC clip if OOB. offset
_buffer_load_d16_hi_b16 v16, v15, s[sgprSrdC:sgprSrdC+3], 0, offen offset:0 // load C for beta calc
_v_add_lshl_u32 v15, v3, v4, 0x1                   // scaleToBpe: accumulate d0 lower and *= bpe into Cin addr
v_cndmask_b32 v15, -1, v15, s[58:59]               // LDD clip if OOB. offset
/* (d1,vc1,d0,vc0)=(0,1,0,0) */
_v_add_co_u32 v1, vcc, v1, 1                       // coord1.1: coord1Vgpr += d1*sg1*VW + vc1

/* Fix for UseInitialStridesCD, emitAddressSetupCode */
_v_add_u32 v2, v2, s[sgprStrideC1J]                // ROWINC- Move cinRowPtr to next row
_v_add_u32 v3, v3, s[sgprStrideD1J]                // Move coutRowPtr to next row
v_cmp_lt_u32 s[54:55], v0, s[sgprSizeI]            // coord0 < size0
v_cmp_lt_u32 s[58:59], v1, s[sgprSizeJ]            // coord1 < size1
s_and_b64 s[58:59], s[54:55], s[58:59]             // in0 && in1
_v_add_lshl_u32 v18, v2, v0, 0x1                   // scaleToBpe: accumulate d0 lower and *= bpe into Cin addr
v_cndmask_b32 v18, -1, v18, s[58:59]               // LDC clip if OOB. offset
_buffer_load_d16_b16 v19, v18, s[sgprSrdC:sgprSrdC+3], 0, offen offset:0 // load C for beta calc
_v_add_lshl_u32 v18, v3, v0, 0x1                   // scaleToBpe: accumulate d0 lower and *= bpe into Cin addr
v_cndmask_b32 v18, -1, v18, s[58:59]               // LDD clip if OOB. offset
/* (d1,vc1,d0,vc0)=(0,1,0,1) */
_v_add_co_u32 v4, vcc, v0, 1                       // coord0.1: coord0 += d0*sg0*VW + vc0
v_cmp_lt_u32 s[54:55], v4, s[sgprSizeI]            // coord0 < size0
v_cmp_lt_u32 s[58:59], v1, s[sgprSizeJ]            // coord1 < size1
s_and_b64 s[58:59], s[54:55], s[58:59]             // in0 && in1
_v_add_lshl_u32 v21, v2, v4, 0x1                   // scaleToBpe: accumulate d0 lower and *= bpe into Cin addr
v_cndmask_b32 v21, -1, v21, s[58:59]               // LDC clip if OOB. offset
_buffer_load_d16_hi_b16 v22, v21, s[sgprSrdC:sgprSrdC+3], 0, offen offset:0 // load C for beta calc
_v_add_lshl_u32 v21, v3, v4, 0x1                   // scaleToBpe: accumulate d0 lower and *= bpe into Cin addr
v_cndmask_b32 v21, -1, v21, s[58:59]               // LDD clip if OOB. offset
/* (d1,vc1,d0,vc0)=(0,1,0,2) */
_v_add_co_u32 v4, vcc, v0, 2                       // coord0.1: coord0 += d0*sg0*VW + vc0
v_cmp_lt_u32 s[54:55], v4, s[sgprSizeI]            // coord0 < size0
v_cmp_lt_u32 s[58:59], v1, s[sgprSizeJ]            // coord1 < size1
s_and_b64 s[58:59], s[54:55], s[58:59]             // in0 && in1
_v_add_lshl_u32 v24, v2, v4, 0x1                   // scaleToBpe: accumulate d0 lower and *= bpe into Cin addr
v_cndmask_b32 v24, -1, v24, s[58:59]               // LDC clip if OOB. offset
_buffer_load_d16_b16 v25, v24, s[sgprSrdC:sgprSrdC+3], 0, offen offset:0 // load C for beta calc
_v_add_lshl_u32 v24, v3, v4, 0x1                   // scaleToBpe: accumulate d0 lower and *= bpe into Cin addr
v_cndmask_b32 v24, -1, v24, s[58:59]               // LDD clip if OOB. offset
/* (d1,vc1,d0,vc0)=(0,1,0,3) */
_v_add_co_u32 v4, vcc, v0, 3                       // coord0.1: coord0 += d0*sg0*VW + vc0
v_cmp_lt_u32 s[54:55], v4, s[sgprSizeI]            // coord0 < size0
v_cmp_lt_u32 s[58:59], v1, s[sgprSizeJ]            // coord1 < size1
s_and_b64 s[58:59], s[54:55], s[58:59]             // in0 && in1
_v_add_lshl_u32 v27, v2, v4, 0x1                   // scaleToBpe: accumulate d0 lower and *= bpe into Cin addr
v_cndmask_b32 v27, -1, v27, s[58:59]               // LDC clip if OOB. offset
_buffer_load_d16_hi_b16 v28, v27, s[sgprSrdC:sgprSrdC+3], 0, offen offset:0 // load C for beta calc
_v_add_lshl_u32 v27, v3, v4, 0x1                   // scaleToBpe: accumulate d0 lower and *= bpe into Cin addr
v_cndmask_b32 v27, -1, v27, s[58:59]               // LDD clip if OOB. offset
/* (d1,vc1,d0,vc0)=(0,2,0,0) */
_v_add_co_u32 v1, vcc, v1, 1                       // coord1.1: coord1Vgpr += d1*sg1*VW + vc1

/* Fix for UseInitialStridesCD, emitAddressSetupCode */
_v_add_u32 v2, v2, s[sgprStrideC1J]                // ROWINC- Move cinRowPtr to next row
_v_add_u32 v3, v3, s[sgprStrideD1J]                // Move coutRowPtr to next row
v_cmp_lt_u32 s[54:55], v0, s[sgprSizeI]            // coord0 < size0
v_cmp_lt_u32 s[58:59], v1, s[sgprSizeJ]            // coord1 < size1
s_and_b64 s[58:59], s[54:55], s[58:59]             // in0 && in1
_v_add_lshl_u32 v30, v2, v0, 0x1                   // scaleToBpe: accumulate d0 lower and *= bpe into Cin addr
v_cndmask_b32 v30, -1, v30, s[58:59]               // LDC clip if OOB. offset
_buffer_load_d16_b16 v31, v30, s[sgprSrdC:sgprSrdC+3], 0, offen offset:0 // load C for beta calc
_v_add_lshl_u32 v30, v3, v0, 0x1                   // scaleToBpe: accumulate d0 lower and *= bpe into Cin addr
v_cndmask_b32 v30, -1, v30, s[58:59]               // LDD clip if OOB. offset
/* (d1,vc1,d0,vc0)=(0,2,0,1) */
_v_add_co_u32 v4, vcc, v0, 1                       // coord0.1: coord0 += d0*sg0*VW + vc0
v_cmp_lt_u32 s[54:55], v4, s[sgprSizeI]            // coord0 < size0
v_cmp_lt_u32 s[58:59], v1, s[sgprSizeJ]            // coord1 < size1
s_and_b64 s[58:59], s[54:55], s[58:59]             // in0 && in1
_v_add_lshl_u32 v33, v2, v4, 0x1                   // scaleToBpe: accumulate d0 lower and *= bpe into Cin addr
v_cndmask_b32 v33, -1, v33, s[58:59]               // LDC clip if OOB. offset
_buffer_load_d16_hi_b16 v34, v33, s[sgprSrdC:sgprSrdC+3], 0, offen offset:0 // load C for beta calc
_v_add_lshl_u32 v33, v3, v4, 0x1                   // scaleToBpe: accumulate d0 lower and *= bpe into Cin addr
v_cndmask_b32 v33, -1, v33, s[58:59]               // LDD clip if OOB. offset
	;; [unrolled: 44-line block ×3, first 2 shown]
/* (d1,vc1,d0,vc0)=(0,3,0,2) */
_v_add_co_u32 v4, vcc, v0, 2                       // coord0.1: coord0 += d0*sg0*VW + vc0
v_cmp_lt_u32 s[54:55], v4, s[sgprSizeI]            // coord0 < size0
v_cmp_lt_u32 s[58:59], v1, s[sgprSizeJ]            // coord1 < size1
s_and_b64 s[58:59], s[54:55], s[58:59]             // in0 && in1
_v_add_lshl_u32 v48, v2, v4, 0x1                   // scaleToBpe: accumulate d0 lower and *= bpe into Cin addr
v_cndmask_b32 v48, -1, v48, s[58:59]               // LDC clip if OOB. offset
_buffer_load_d16_b16 v49, v48, s[sgprSrdC:sgprSrdC+3], 0, offen offset:0 // load C for beta calc
_v_add_lshl_u32 v48, v3, v4, 0x1                   // scaleToBpe: accumulate d0 lower and *= bpe into Cin addr
v_cndmask_b32 v48, -1, v48, s[58:59]               // LDD clip if OOB. offset
/* (d1,vc1,d0,vc0)=(0,3,0,3) */
_v_add_co_u32 v4, vcc, v0, 3                       // coord0.1: coord0 += d0*sg0*VW + vc0
v_cmp_lt_u32 s[54:55], v4, s[sgprSizeI]            // coord0 < size0
v_cmp_lt_u32 s[58:59], v1, s[sgprSizeJ]            // coord1 < size1
s_and_b64 s[58:59], s[54:55], s[58:59]             // in0 && in1
_v_add_lshl_u32 v51, v2, v4, 0x1                   // scaleToBpe: accumulate d0 lower and *= bpe into Cin addr
v_cndmask_b32 v51, -1, v51, s[58:59]               // LDC clip if OOB. offset
_buffer_load_d16_hi_b16 v52, v51, s[sgprSrdC:sgprSrdC+3], 0, offen offset:0 // load C for beta calc
_v_add_lshl_u32 v51, v3, v4, 0x1                   // scaleToBpe: accumulate d0 lower and *= bpe into Cin addr
v_cndmask_b32 v51, -1, v51, s[58:59]               // LDD clip if OOB. offset
s_sleep 3 // optimization: sync and wait
s_barrier
v_accvgpr_read_b32 v[vgprValuC+8], acc0 // copy acc to vreg[0]
v_accvgpr_read_b32 v[vgprValuC+11], acc4 // copy acc to vreg[1]
v_accvgpr_read_b32 v[vgprValuC+14], acc8 // copy acc to vreg[2]
v_accvgpr_read_b32 v[vgprValuC+17], acc12 // copy acc to vreg[3]
v_accvgpr_read_b32 v[vgprValuC+20], acc16 // copy acc to vreg[4]
v_accvgpr_read_b32 v[vgprValuC+23], acc20 // copy acc to vreg[5]
v_accvgpr_read_b32 v[vgprValuC+26], acc24 // copy acc to vreg[6]
v_accvgpr_read_b32 v[vgprValuC+29], acc28 // copy acc to vreg[7]
v_accvgpr_read_b32 v[vgprValuC+32], acc1 // copy acc to vreg[8]
v_accvgpr_read_b32 v[vgprValuC+35], acc5 // copy acc to vreg[9]
v_accvgpr_read_b32 v[vgprValuC+38], acc9 // copy acc to vreg[10]
v_accvgpr_read_b32 v[vgprValuC+41], acc13 // copy acc to vreg[11]
v_accvgpr_read_b32 v[vgprValuC+44], acc17 // copy acc to vreg[12]
v_accvgpr_read_b32 v[vgprValuC+47], acc21 // copy acc to vreg[13]
v_accvgpr_read_b32 v[vgprValuC+50], acc25 // copy acc to vreg[14]
v_accvgpr_read_b32 v[vgprValuC+53], acc29 // copy acc to vreg[15]
s_nop 1                                            // 2 wait states required before reading vgpr

/* rC *= alpha batchElements=[(0, 0, 0, 0), (0, 0, 0, 1), (0, 0, 0, 2), (0, 0, 0, 3), (0, 0, 1, 0), (0, 0, 1, 1), (0, 0, 1, 2), (0, 0, 1, 3), (0, 0, 2, 0), (0, 0, 2, 1), (0, 0, 2, 2), (0, 0, 2, 3), (0, 0, 3, 0), (0, 0, 3, 1), (0, 0, 3, 2), (0, 0, 3, 3)] */
v_mul_f32 v[vgprValuC+8], s[sgprAlpha], v[vgprValuC+8] // *= alpha
v_mul_f32 v[vgprValuC+11], s[sgprAlpha], v[vgprValuC+11] // *= alpha
	;; [unrolled: 1-line block ×16, first 2 shown]
s_waitcnt vmcnt(0)                                 // wait C

/* apply mask, calc new C and issue writes */
v_fma_mix_f32 v[vgprValuC+8], s[sgprBeta], v7, v[vgprValuC+8], op_sel:[0,0,0] op_sel_hi:[0,1,0] // //C*=beta
v_cvt_f16_f32 v[vgprValuC+8], v[vgprValuC+8]       // convert C to fp16
_buffer_store_b16 v8, v6, s[sgprSrdD:sgprSrdD+3], 0, offen, offset:0 // store D
v_fma_mix_f32 v[vgprValuC+11], s[sgprBeta], v10, v[vgprValuC+11], op_sel:[0,1,0] op_sel_hi:[0,1,0] // //C*=beta
v_cvt_f16_f32 v[vgprValuC+11], v[vgprValuC+11]     // convert C to fp16
_buffer_store_b16 v11, v9, s[sgprSrdD:sgprSrdD+3], 0, offen, offset:0 // store D
v_fma_mix_f32 v[vgprValuC+14], s[sgprBeta], v13, v[vgprValuC+14], op_sel:[0,0,0] op_sel_hi:[0,1,0] // //C*=beta
v_cvt_f16_f32 v[vgprValuC+14], v[vgprValuC+14]     // convert C to fp16
	;; [unrolled: 3-line block ×15, first 2 shown]
_buffer_store_b16 v53, v51, s[sgprSrdD:sgprSrdD+3], 0, offen, offset:0 // store D
s_nop 0                                            // 1 wait state required when next inst writes vgprs held by previous dwordx4 store inst
/* optSingleColVgpr=0 optSharedColVgpr=0 optSGPRUsage=BufferLoad_Edge_Mask optSrdIncForRow=0 */
s_sleep 3 // optimization: sync and wait
s_barrier

/******************************************/
/* Global Write Alpha Beta Edge Batch #1 (d1,d0,vc1,vc0) = */
/*    (0,0,4,0:vw1); (0,0,4,1:vw1); (0,0,4,2:vw1); (0,0,4,3:vw1); (0,0,5,0:vw1); (0,0,5,1:vw1); (0,0,5,2:vw1); (0,0,5,3:vw1); (0,0,6,0:vw1); (0,0,6,1:vw1); (0,0,6,2:vw1); (0,0,6,3:vw1); (0,0,7,0:vw1); (0,0,7,1:vw1); (0,0,7,2:vw1); (0,0,7,3:vw1) */
/******************************************/

/* calc coords, apply mask, and issue loads (if necessary) */
/* (d1,vc1,d0,vc0)=(0,4,0,0) */
_v_add_co_u32 v1, vcc, v1, 1                       // coord1.1: coord1Vgpr += d1*sg1*VW + vc1

/* Fix for UseInitialStridesCD, emitAddressSetupCode */
_v_add_u32 v2, v2, s[sgprStrideC1J]                // ROWINC- Move cinRowPtr to next row
_v_add_u32 v3, v3, s[sgprStrideD1J]                // Move coutRowPtr to next row
v_cmp_lt_u32 s[54:55], v0, s[sgprSizeI]            // coord0 < size0
v_cmp_lt_u32 s[58:59], v1, s[sgprSizeJ]            // coord1 < size1
s_and_b64 s[58:59], s[54:55], s[58:59]             // in0 && in1
_v_add_lshl_u32 v6, v2, v0, 0x1                    // scaleToBpe: accumulate d0 lower and *= bpe into Cin addr
v_cndmask_b32 v6, -1, v6, s[58:59]                 // LDC clip if OOB. offset
_buffer_load_d16_b16 v7, v6, s[sgprSrdC:sgprSrdC+3], 0, offen offset:0 // load C for beta calc
_v_add_lshl_u32 v6, v3, v0, 0x1                    // scaleToBpe: accumulate d0 lower and *= bpe into Cin addr
v_cndmask_b32 v6, -1, v6, s[58:59]                 // LDD clip if OOB. offset
/* (d1,vc1,d0,vc0)=(0,4,0,1) */
_v_add_co_u32 v4, vcc, v0, 1                       // coord0.1: coord0 += d0*sg0*VW + vc0
v_cmp_lt_u32 s[54:55], v4, s[sgprSizeI]            // coord0 < size0
v_cmp_lt_u32 s[58:59], v1, s[sgprSizeJ]            // coord1 < size1
s_and_b64 s[58:59], s[54:55], s[58:59]             // in0 && in1
_v_add_lshl_u32 v9, v2, v4, 0x1                    // scaleToBpe: accumulate d0 lower and *= bpe into Cin addr
v_cndmask_b32 v9, -1, v9, s[58:59]                 // LDC clip if OOB. offset
_buffer_load_d16_hi_b16 v10, v9, s[sgprSrdC:sgprSrdC+3], 0, offen offset:0 // load C for beta calc
_v_add_lshl_u32 v9, v3, v4, 0x1                    // scaleToBpe: accumulate d0 lower and *= bpe into Cin addr
v_cndmask_b32 v9, -1, v9, s[58:59]                 // LDD clip if OOB. offset
/* (d1,vc1,d0,vc0)=(0,4,0,2) */
_v_add_co_u32 v4, vcc, v0, 2                       // coord0.1: coord0 += d0*sg0*VW + vc0
v_cmp_lt_u32 s[54:55], v4, s[sgprSizeI]            // coord0 < size0
v_cmp_lt_u32 s[58:59], v1, s[sgprSizeJ]            // coord1 < size1
s_and_b64 s[58:59], s[54:55], s[58:59]             // in0 && in1
_v_add_lshl_u32 v12, v2, v4, 0x1                   // scaleToBpe: accumulate d0 lower and *= bpe into Cin addr
v_cndmask_b32 v12, -1, v12, s[58:59]               // LDC clip if OOB. offset
_buffer_load_d16_b16 v13, v12, s[sgprSrdC:sgprSrdC+3], 0, offen offset:0 // load C for beta calc
_v_add_lshl_u32 v12, v3, v4, 0x1                   // scaleToBpe: accumulate d0 lower and *= bpe into Cin addr
v_cndmask_b32 v12, -1, v12, s[58:59]               // LDD clip if OOB. offset
/* (d1,vc1,d0,vc0)=(0,4,0,3) */
_v_add_co_u32 v4, vcc, v0, 3                       // coord0.1: coord0 += d0*sg0*VW + vc0
v_cmp_lt_u32 s[54:55], v4, s[sgprSizeI]            // coord0 < size0
v_cmp_lt_u32 s[58:59], v1, s[sgprSizeJ]            // coord1 < size1
s_and_b64 s[58:59], s[54:55], s[58:59]             // in0 && in1
_v_add_lshl_u32 v15, v2, v4, 0x1                   // scaleToBpe: accumulate d0 lower and *= bpe into Cin addr
v_cndmask_b32 v15, -1, v15, s[58:59]               // LDC clip if OOB. offset
_buffer_load_d16_hi_b16 v16, v15, s[sgprSrdC:sgprSrdC+3], 0, offen offset:0 // load C for beta calc
_v_add_lshl_u32 v15, v3, v4, 0x1                   // scaleToBpe: accumulate d0 lower and *= bpe into Cin addr
v_cndmask_b32 v15, -1, v15, s[58:59]               // LDD clip if OOB. offset
/* (d1,vc1,d0,vc0)=(0,5,0,0) */
_v_add_co_u32 v1, vcc, v1, 1                       // coord1.1: coord1Vgpr += d1*sg1*VW + vc1

/* Fix for UseInitialStridesCD, emitAddressSetupCode */
_v_add_u32 v2, v2, s[sgprStrideC1J]                // ROWINC- Move cinRowPtr to next row
_v_add_u32 v3, v3, s[sgprStrideD1J]                // Move coutRowPtr to next row
v_cmp_lt_u32 s[54:55], v0, s[sgprSizeI]            // coord0 < size0
v_cmp_lt_u32 s[58:59], v1, s[sgprSizeJ]            // coord1 < size1
s_and_b64 s[58:59], s[54:55], s[58:59]             // in0 && in1
_v_add_lshl_u32 v18, v2, v0, 0x1                   // scaleToBpe: accumulate d0 lower and *= bpe into Cin addr
v_cndmask_b32 v18, -1, v18, s[58:59]               // LDC clip if OOB. offset
_buffer_load_d16_b16 v19, v18, s[sgprSrdC:sgprSrdC+3], 0, offen offset:0 // load C for beta calc
_v_add_lshl_u32 v18, v3, v0, 0x1                   // scaleToBpe: accumulate d0 lower and *= bpe into Cin addr
v_cndmask_b32 v18, -1, v18, s[58:59]               // LDD clip if OOB. offset
/* (d1,vc1,d0,vc0)=(0,5,0,1) */
_v_add_co_u32 v4, vcc, v0, 1                       // coord0.1: coord0 += d0*sg0*VW + vc0
v_cmp_lt_u32 s[54:55], v4, s[sgprSizeI]            // coord0 < size0
v_cmp_lt_u32 s[58:59], v1, s[sgprSizeJ]            // coord1 < size1
s_and_b64 s[58:59], s[54:55], s[58:59]             // in0 && in1
_v_add_lshl_u32 v21, v2, v4, 0x1                   // scaleToBpe: accumulate d0 lower and *= bpe into Cin addr
v_cndmask_b32 v21, -1, v21, s[58:59]               // LDC clip if OOB. offset
_buffer_load_d16_hi_b16 v22, v21, s[sgprSrdC:sgprSrdC+3], 0, offen offset:0 // load C for beta calc
_v_add_lshl_u32 v21, v3, v4, 0x1                   // scaleToBpe: accumulate d0 lower and *= bpe into Cin addr
v_cndmask_b32 v21, -1, v21, s[58:59]               // LDD clip if OOB. offset
/* (d1,vc1,d0,vc0)=(0,5,0,2) */
_v_add_co_u32 v4, vcc, v0, 2                       // coord0.1: coord0 += d0*sg0*VW + vc0
v_cmp_lt_u32 s[54:55], v4, s[sgprSizeI]            // coord0 < size0
v_cmp_lt_u32 s[58:59], v1, s[sgprSizeJ]            // coord1 < size1
s_and_b64 s[58:59], s[54:55], s[58:59]             // in0 && in1
_v_add_lshl_u32 v24, v2, v4, 0x1                   // scaleToBpe: accumulate d0 lower and *= bpe into Cin addr
v_cndmask_b32 v24, -1, v24, s[58:59]               // LDC clip if OOB. offset
_buffer_load_d16_b16 v25, v24, s[sgprSrdC:sgprSrdC+3], 0, offen offset:0 // load C for beta calc
_v_add_lshl_u32 v24, v3, v4, 0x1                   // scaleToBpe: accumulate d0 lower and *= bpe into Cin addr
v_cndmask_b32 v24, -1, v24, s[58:59]               // LDD clip if OOB. offset
/* (d1,vc1,d0,vc0)=(0,5,0,3) */
_v_add_co_u32 v4, vcc, v0, 3                       // coord0.1: coord0 += d0*sg0*VW + vc0
v_cmp_lt_u32 s[54:55], v4, s[sgprSizeI]            // coord0 < size0
v_cmp_lt_u32 s[58:59], v1, s[sgprSizeJ]            // coord1 < size1
s_and_b64 s[58:59], s[54:55], s[58:59]             // in0 && in1
_v_add_lshl_u32 v27, v2, v4, 0x1                   // scaleToBpe: accumulate d0 lower and *= bpe into Cin addr
v_cndmask_b32 v27, -1, v27, s[58:59]               // LDC clip if OOB. offset
_buffer_load_d16_hi_b16 v28, v27, s[sgprSrdC:sgprSrdC+3], 0, offen offset:0 // load C for beta calc
_v_add_lshl_u32 v27, v3, v4, 0x1                   // scaleToBpe: accumulate d0 lower and *= bpe into Cin addr
v_cndmask_b32 v27, -1, v27, s[58:59]               // LDD clip if OOB. offset
/* (d1,vc1,d0,vc0)=(0,6,0,0) */
_v_add_co_u32 v1, vcc, v1, 1                       // coord1.1: coord1Vgpr += d1*sg1*VW + vc1

/* Fix for UseInitialStridesCD, emitAddressSetupCode */
_v_add_u32 v2, v2, s[sgprStrideC1J]                // ROWINC- Move cinRowPtr to next row
_v_add_u32 v3, v3, s[sgprStrideD1J]                // Move coutRowPtr to next row
v_cmp_lt_u32 s[54:55], v0, s[sgprSizeI]            // coord0 < size0
v_cmp_lt_u32 s[58:59], v1, s[sgprSizeJ]            // coord1 < size1
s_and_b64 s[58:59], s[54:55], s[58:59]             // in0 && in1
_v_add_lshl_u32 v30, v2, v0, 0x1                   // scaleToBpe: accumulate d0 lower and *= bpe into Cin addr
v_cndmask_b32 v30, -1, v30, s[58:59]               // LDC clip if OOB. offset
_buffer_load_d16_b16 v31, v30, s[sgprSrdC:sgprSrdC+3], 0, offen offset:0 // load C for beta calc
_v_add_lshl_u32 v30, v3, v0, 0x1                   // scaleToBpe: accumulate d0 lower and *= bpe into Cin addr
v_cndmask_b32 v30, -1, v30, s[58:59]               // LDD clip if OOB. offset
/* (d1,vc1,d0,vc0)=(0,6,0,1) */
_v_add_co_u32 v4, vcc, v0, 1                       // coord0.1: coord0 += d0*sg0*VW + vc0
v_cmp_lt_u32 s[54:55], v4, s[sgprSizeI]            // coord0 < size0
v_cmp_lt_u32 s[58:59], v1, s[sgprSizeJ]            // coord1 < size1
s_and_b64 s[58:59], s[54:55], s[58:59]             // in0 && in1
_v_add_lshl_u32 v33, v2, v4, 0x1                   // scaleToBpe: accumulate d0 lower and *= bpe into Cin addr
v_cndmask_b32 v33, -1, v33, s[58:59]               // LDC clip if OOB. offset
_buffer_load_d16_hi_b16 v34, v33, s[sgprSrdC:sgprSrdC+3], 0, offen offset:0 // load C for beta calc
_v_add_lshl_u32 v33, v3, v4, 0x1                   // scaleToBpe: accumulate d0 lower and *= bpe into Cin addr
v_cndmask_b32 v33, -1, v33, s[58:59]               // LDD clip if OOB. offset
	;; [unrolled: 44-line block ×3, first 2 shown]
/* (d1,vc1,d0,vc0)=(0,7,0,2) */
_v_add_co_u32 v4, vcc, v0, 2                       // coord0.1: coord0 += d0*sg0*VW + vc0
v_cmp_lt_u32 s[54:55], v4, s[sgprSizeI]            // coord0 < size0
v_cmp_lt_u32 s[58:59], v1, s[sgprSizeJ]            // coord1 < size1
s_and_b64 s[58:59], s[54:55], s[58:59]             // in0 && in1
_v_add_lshl_u32 v48, v2, v4, 0x1                   // scaleToBpe: accumulate d0 lower and *= bpe into Cin addr
v_cndmask_b32 v48, -1, v48, s[58:59]               // LDC clip if OOB. offset
_buffer_load_d16_b16 v49, v48, s[sgprSrdC:sgprSrdC+3], 0, offen offset:0 // load C for beta calc
_v_add_lshl_u32 v48, v3, v4, 0x1                   // scaleToBpe: accumulate d0 lower and *= bpe into Cin addr
v_cndmask_b32 v48, -1, v48, s[58:59]               // LDD clip if OOB. offset
/* (d1,vc1,d0,vc0)=(0,7,0,3) */
_v_add_co_u32 v4, vcc, v0, 3                       // coord0.1: coord0 += d0*sg0*VW + vc0
v_cmp_lt_u32 s[54:55], v4, s[sgprSizeI]            // coord0 < size0
v_cmp_lt_u32 s[58:59], v1, s[sgprSizeJ]            // coord1 < size1
s_and_b64 s[58:59], s[54:55], s[58:59]             // in0 && in1
_v_add_lshl_u32 v51, v2, v4, 0x1                   // scaleToBpe: accumulate d0 lower and *= bpe into Cin addr
v_cndmask_b32 v51, -1, v51, s[58:59]               // LDC clip if OOB. offset
_buffer_load_d16_hi_b16 v52, v51, s[sgprSrdC:sgprSrdC+3], 0, offen offset:0 // load C for beta calc
_v_add_lshl_u32 v51, v3, v4, 0x1                   // scaleToBpe: accumulate d0 lower and *= bpe into Cin addr
v_cndmask_b32 v51, -1, v51, s[58:59]               // LDD clip if OOB. offset
s_sleep 3 // optimization: sync and wait
s_barrier
v_accvgpr_read_b32 v[vgprValuC+8], acc2 // copy acc to vreg[16]
v_accvgpr_read_b32 v[vgprValuC+11], acc6 // copy acc to vreg[17]
v_accvgpr_read_b32 v[vgprValuC+14], acc10 // copy acc to vreg[18]
v_accvgpr_read_b32 v[vgprValuC+17], acc14 // copy acc to vreg[19]
v_accvgpr_read_b32 v[vgprValuC+20], acc18 // copy acc to vreg[20]
v_accvgpr_read_b32 v[vgprValuC+23], acc22 // copy acc to vreg[21]
v_accvgpr_read_b32 v[vgprValuC+26], acc26 // copy acc to vreg[22]
v_accvgpr_read_b32 v[vgprValuC+29], acc30 // copy acc to vreg[23]
v_accvgpr_read_b32 v[vgprValuC+32], acc3 // copy acc to vreg[24]
v_accvgpr_read_b32 v[vgprValuC+35], acc7 // copy acc to vreg[25]
v_accvgpr_read_b32 v[vgprValuC+38], acc11 // copy acc to vreg[26]
v_accvgpr_read_b32 v[vgprValuC+41], acc15 // copy acc to vreg[27]
v_accvgpr_read_b32 v[vgprValuC+44], acc19 // copy acc to vreg[28]
v_accvgpr_read_b32 v[vgprValuC+47], acc23 // copy acc to vreg[29]
v_accvgpr_read_b32 v[vgprValuC+50], acc27 // copy acc to vreg[30]
v_accvgpr_read_b32 v[vgprValuC+53], acc31 // copy acc to vreg[31]
s_nop 1                                            // 2 wait states required before reading vgpr

/* rC *= alpha batchElements=[(0, 0, 4, 0), (0, 0, 4, 1), (0, 0, 4, 2), (0, 0, 4, 3), (0, 0, 5, 0), (0, 0, 5, 1), (0, 0, 5, 2), (0, 0, 5, 3), (0, 0, 6, 0), (0, 0, 6, 1), (0, 0, 6, 2), (0, 0, 6, 3), (0, 0, 7, 0), (0, 0, 7, 1), (0, 0, 7, 2), (0, 0, 7, 3)] */
v_mul_f32 v[vgprValuC+8], s[sgprAlpha], v[vgprValuC+8] // *= alpha
v_mul_f32 v[vgprValuC+11], s[sgprAlpha], v[vgprValuC+11] // *= alpha
	;; [unrolled: 1-line block ×16, first 2 shown]
s_waitcnt vmcnt(0)                                 // wait C

/* apply mask, calc new C and issue writes */
v_fma_mix_f32 v[vgprValuC+8], s[sgprBeta], v7, v[vgprValuC+8], op_sel:[0,0,0] op_sel_hi:[0,1,0] // //C*=beta
v_cvt_f16_f32 v[vgprValuC+8], v[vgprValuC+8]       // convert C to fp16
_buffer_store_b16 v8, v6, s[sgprSrdD:sgprSrdD+3], 0, offen, offset:0 // store D
v_fma_mix_f32 v[vgprValuC+11], s[sgprBeta], v10, v[vgprValuC+11], op_sel:[0,1,0] op_sel_hi:[0,1,0] // //C*=beta
v_cvt_f16_f32 v[vgprValuC+11], v[vgprValuC+11]     // convert C to fp16
_buffer_store_b16 v11, v9, s[sgprSrdD:sgprSrdD+3], 0, offen, offset:0 // store D
v_fma_mix_f32 v[vgprValuC+14], s[sgprBeta], v13, v[vgprValuC+14], op_sel:[0,0,0] op_sel_hi:[0,1,0] // //C*=beta
v_cvt_f16_f32 v[vgprValuC+14], v[vgprValuC+14]     // convert C to fp16
	;; [unrolled: 3-line block ×15, first 2 shown]
_buffer_store_b16 v53, v51, s[sgprSrdD:sgprSrdD+3], 0, offen, offset:0 // store D
s_nop 0                                            // 1 wait state required when next inst writes vgprs held by previous dwordx4 store inst
/* optSingleColVgpr=0 optSharedColVgpr=0 optSGPRUsage=BufferLoad_Edge_Mask optSrdIncForRow=0 */
s_sleep 3 // optimization: sync and wait
s_barrier

/******************************************/
/* Global Write Alpha Beta Edge Batch #2 (d1,d0,vc1,vc0) = */
/*    (1,0,0,0:vw1); (1,0,0,1:vw1); (1,0,0,2:vw1); (1,0,0,3:vw1); (1,0,1,0:vw1); (1,0,1,1:vw1); (1,0,1,2:vw1); (1,0,1,3:vw1); (1,0,2,0:vw1); (1,0,2,1:vw1); (1,0,2,2:vw1); (1,0,2,3:vw1); (1,0,3,0:vw1); (1,0,3,1:vw1); (1,0,3,2:vw1); (1,0,3,3:vw1) */
/******************************************/

/* calc coords, apply mask, and issue loads (if necessary) */
/* (d1,vc1,d0,vc0)=(1,0,0,0) */
_v_add_co_u32 v1, vcc, v1, 57                      // coord1.1: coord1Vgpr += d1*sg1*VW + vc1

/* Fix for UseInitialStridesCD, emitAddressSetupCode */
s_mul_i32 s54, s[sgprStrideC1J], 57                // scale stride
_v_add_u32 v2, v2, s54                             // ROWINC- Move cinRowPtr to next row
s_mul_i32 s54, s[sgprStrideD1J], 57                // scale stride
_v_add_u32 v3, v3, s54                             // Move coutRowPtr to next row
v_cmp_lt_u32 s[54:55], v0, s[sgprSizeI]            // coord0 < size0
v_cmp_lt_u32 s[58:59], v1, s[sgprSizeJ]            // coord1 < size1
s_and_b64 s[58:59], s[54:55], s[58:59]             // in0 && in1
_v_add_lshl_u32 v6, v2, v0, 0x1                    // scaleToBpe: accumulate d0 lower and *= bpe into Cin addr
v_cndmask_b32 v6, -1, v6, s[58:59]                 // LDC clip if OOB. offset
_buffer_load_d16_b16 v7, v6, s[sgprSrdC:sgprSrdC+3], 0, offen offset:0 // load C for beta calc
_v_add_lshl_u32 v6, v3, v0, 0x1                    // scaleToBpe: accumulate d0 lower and *= bpe into Cin addr
v_cndmask_b32 v6, -1, v6, s[58:59]                 // LDD clip if OOB. offset
/* (d1,vc1,d0,vc0)=(1,0,0,1) */
_v_add_co_u32 v4, vcc, v0, 1                       // coord0.1: coord0 += d0*sg0*VW + vc0
v_cmp_lt_u32 s[54:55], v4, s[sgprSizeI]            // coord0 < size0
v_cmp_lt_u32 s[58:59], v1, s[sgprSizeJ]            // coord1 < size1
s_and_b64 s[58:59], s[54:55], s[58:59]             // in0 && in1
_v_add_lshl_u32 v9, v2, v4, 0x1                    // scaleToBpe: accumulate d0 lower and *= bpe into Cin addr
v_cndmask_b32 v9, -1, v9, s[58:59]                 // LDC clip if OOB. offset
_buffer_load_d16_hi_b16 v10, v9, s[sgprSrdC:sgprSrdC+3], 0, offen offset:0 // load C for beta calc
_v_add_lshl_u32 v9, v3, v4, 0x1                    // scaleToBpe: accumulate d0 lower and *= bpe into Cin addr
v_cndmask_b32 v9, -1, v9, s[58:59]                 // LDD clip if OOB. offset
/* (d1,vc1,d0,vc0)=(1,0,0,2) */
_v_add_co_u32 v4, vcc, v0, 2                       // coord0.1: coord0 += d0*sg0*VW + vc0
v_cmp_lt_u32 s[54:55], v4, s[sgprSizeI]            // coord0 < size0
v_cmp_lt_u32 s[58:59], v1, s[sgprSizeJ]            // coord1 < size1
s_and_b64 s[58:59], s[54:55], s[58:59]             // in0 && in1
_v_add_lshl_u32 v12, v2, v4, 0x1                   // scaleToBpe: accumulate d0 lower and *= bpe into Cin addr
v_cndmask_b32 v12, -1, v12, s[58:59]               // LDC clip if OOB. offset
_buffer_load_d16_b16 v13, v12, s[sgprSrdC:sgprSrdC+3], 0, offen offset:0 // load C for beta calc
_v_add_lshl_u32 v12, v3, v4, 0x1                   // scaleToBpe: accumulate d0 lower and *= bpe into Cin addr
v_cndmask_b32 v12, -1, v12, s[58:59]               // LDD clip if OOB. offset
/* (d1,vc1,d0,vc0)=(1,0,0,3) */
_v_add_co_u32 v4, vcc, v0, 3                       // coord0.1: coord0 += d0*sg0*VW + vc0
v_cmp_lt_u32 s[54:55], v4, s[sgprSizeI]            // coord0 < size0
v_cmp_lt_u32 s[58:59], v1, s[sgprSizeJ]            // coord1 < size1
s_and_b64 s[58:59], s[54:55], s[58:59]             // in0 && in1
_v_add_lshl_u32 v15, v2, v4, 0x1                   // scaleToBpe: accumulate d0 lower and *= bpe into Cin addr
v_cndmask_b32 v15, -1, v15, s[58:59]               // LDC clip if OOB. offset
_buffer_load_d16_hi_b16 v16, v15, s[sgprSrdC:sgprSrdC+3], 0, offen offset:0 // load C for beta calc
_v_add_lshl_u32 v15, v3, v4, 0x1                   // scaleToBpe: accumulate d0 lower and *= bpe into Cin addr
v_cndmask_b32 v15, -1, v15, s[58:59]               // LDD clip if OOB. offset
/* (d1,vc1,d0,vc0)=(1,1,0,0) */
_v_add_co_u32 v1, vcc, v1, 1                       // coord1.1: coord1Vgpr += d1*sg1*VW + vc1

/* Fix for UseInitialStridesCD, emitAddressSetupCode */
_v_add_u32 v2, v2, s[sgprStrideC1J]                // ROWINC- Move cinRowPtr to next row
_v_add_u32 v3, v3, s[sgprStrideD1J]                // Move coutRowPtr to next row
v_cmp_lt_u32 s[54:55], v0, s[sgprSizeI]            // coord0 < size0
v_cmp_lt_u32 s[58:59], v1, s[sgprSizeJ]            // coord1 < size1
s_and_b64 s[58:59], s[54:55], s[58:59]             // in0 && in1
_v_add_lshl_u32 v18, v2, v0, 0x1                   // scaleToBpe: accumulate d0 lower and *= bpe into Cin addr
v_cndmask_b32 v18, -1, v18, s[58:59]               // LDC clip if OOB. offset
_buffer_load_d16_b16 v19, v18, s[sgprSrdC:sgprSrdC+3], 0, offen offset:0 // load C for beta calc
_v_add_lshl_u32 v18, v3, v0, 0x1                   // scaleToBpe: accumulate d0 lower and *= bpe into Cin addr
v_cndmask_b32 v18, -1, v18, s[58:59]               // LDD clip if OOB. offset
/* (d1,vc1,d0,vc0)=(1,1,0,1) */
_v_add_co_u32 v4, vcc, v0, 1                       // coord0.1: coord0 += d0*sg0*VW + vc0
v_cmp_lt_u32 s[54:55], v4, s[sgprSizeI]            // coord0 < size0
v_cmp_lt_u32 s[58:59], v1, s[sgprSizeJ]            // coord1 < size1
s_and_b64 s[58:59], s[54:55], s[58:59]             // in0 && in1
_v_add_lshl_u32 v21, v2, v4, 0x1                   // scaleToBpe: accumulate d0 lower and *= bpe into Cin addr
v_cndmask_b32 v21, -1, v21, s[58:59]               // LDC clip if OOB. offset
_buffer_load_d16_hi_b16 v22, v21, s[sgprSrdC:sgprSrdC+3], 0, offen offset:0 // load C for beta calc
_v_add_lshl_u32 v21, v3, v4, 0x1                   // scaleToBpe: accumulate d0 lower and *= bpe into Cin addr
v_cndmask_b32 v21, -1, v21, s[58:59]               // LDD clip if OOB. offset
/* (d1,vc1,d0,vc0)=(1,1,0,2) */
_v_add_co_u32 v4, vcc, v0, 2                       // coord0.1: coord0 += d0*sg0*VW + vc0
v_cmp_lt_u32 s[54:55], v4, s[sgprSizeI]            // coord0 < size0
v_cmp_lt_u32 s[58:59], v1, s[sgprSizeJ]            // coord1 < size1
s_and_b64 s[58:59], s[54:55], s[58:59]             // in0 && in1
_v_add_lshl_u32 v24, v2, v4, 0x1                   // scaleToBpe: accumulate d0 lower and *= bpe into Cin addr
v_cndmask_b32 v24, -1, v24, s[58:59]               // LDC clip if OOB. offset
_buffer_load_d16_b16 v25, v24, s[sgprSrdC:sgprSrdC+3], 0, offen offset:0 // load C for beta calc
_v_add_lshl_u32 v24, v3, v4, 0x1                   // scaleToBpe: accumulate d0 lower and *= bpe into Cin addr
v_cndmask_b32 v24, -1, v24, s[58:59]               // LDD clip if OOB. offset
/* (d1,vc1,d0,vc0)=(1,1,0,3) */
_v_add_co_u32 v4, vcc, v0, 3                       // coord0.1: coord0 += d0*sg0*VW + vc0
v_cmp_lt_u32 s[54:55], v4, s[sgprSizeI]            // coord0 < size0
v_cmp_lt_u32 s[58:59], v1, s[sgprSizeJ]            // coord1 < size1
s_and_b64 s[58:59], s[54:55], s[58:59]             // in0 && in1
_v_add_lshl_u32 v27, v2, v4, 0x1                   // scaleToBpe: accumulate d0 lower and *= bpe into Cin addr
v_cndmask_b32 v27, -1, v27, s[58:59]               // LDC clip if OOB. offset
_buffer_load_d16_hi_b16 v28, v27, s[sgprSrdC:sgprSrdC+3], 0, offen offset:0 // load C for beta calc
_v_add_lshl_u32 v27, v3, v4, 0x1                   // scaleToBpe: accumulate d0 lower and *= bpe into Cin addr
v_cndmask_b32 v27, -1, v27, s[58:59]               // LDD clip if OOB. offset
/* (d1,vc1,d0,vc0)=(1,2,0,0) */
_v_add_co_u32 v1, vcc, v1, 1                       // coord1.1: coord1Vgpr += d1*sg1*VW + vc1

/* Fix for UseInitialStridesCD, emitAddressSetupCode */
_v_add_u32 v2, v2, s[sgprStrideC1J]                // ROWINC- Move cinRowPtr to next row
_v_add_u32 v3, v3, s[sgprStrideD1J]                // Move coutRowPtr to next row
v_cmp_lt_u32 s[54:55], v0, s[sgprSizeI]            // coord0 < size0
v_cmp_lt_u32 s[58:59], v1, s[sgprSizeJ]            // coord1 < size1
s_and_b64 s[58:59], s[54:55], s[58:59]             // in0 && in1
_v_add_lshl_u32 v30, v2, v0, 0x1                   // scaleToBpe: accumulate d0 lower and *= bpe into Cin addr
v_cndmask_b32 v30, -1, v30, s[58:59]               // LDC clip if OOB. offset
_buffer_load_d16_b16 v31, v30, s[sgprSrdC:sgprSrdC+3], 0, offen offset:0 // load C for beta calc
_v_add_lshl_u32 v30, v3, v0, 0x1                   // scaleToBpe: accumulate d0 lower and *= bpe into Cin addr
v_cndmask_b32 v30, -1, v30, s[58:59]               // LDD clip if OOB. offset
/* (d1,vc1,d0,vc0)=(1,2,0,1) */
_v_add_co_u32 v4, vcc, v0, 1                       // coord0.1: coord0 += d0*sg0*VW + vc0
v_cmp_lt_u32 s[54:55], v4, s[sgprSizeI]            // coord0 < size0
v_cmp_lt_u32 s[58:59], v1, s[sgprSizeJ]            // coord1 < size1
s_and_b64 s[58:59], s[54:55], s[58:59]             // in0 && in1
_v_add_lshl_u32 v33, v2, v4, 0x1                   // scaleToBpe: accumulate d0 lower and *= bpe into Cin addr
v_cndmask_b32 v33, -1, v33, s[58:59]               // LDC clip if OOB. offset
_buffer_load_d16_hi_b16 v34, v33, s[sgprSrdC:sgprSrdC+3], 0, offen offset:0 // load C for beta calc
_v_add_lshl_u32 v33, v3, v4, 0x1                   // scaleToBpe: accumulate d0 lower and *= bpe into Cin addr
v_cndmask_b32 v33, -1, v33, s[58:59]               // LDD clip if OOB. offset
	;; [unrolled: 44-line block ×3, first 2 shown]
/* (d1,vc1,d0,vc0)=(1,3,0,2) */
_v_add_co_u32 v4, vcc, v0, 2                       // coord0.1: coord0 += d0*sg0*VW + vc0
v_cmp_lt_u32 s[54:55], v4, s[sgprSizeI]            // coord0 < size0
v_cmp_lt_u32 s[58:59], v1, s[sgprSizeJ]            // coord1 < size1
s_and_b64 s[58:59], s[54:55], s[58:59]             // in0 && in1
_v_add_lshl_u32 v48, v2, v4, 0x1                   // scaleToBpe: accumulate d0 lower and *= bpe into Cin addr
v_cndmask_b32 v48, -1, v48, s[58:59]               // LDC clip if OOB. offset
_buffer_load_d16_b16 v49, v48, s[sgprSrdC:sgprSrdC+3], 0, offen offset:0 // load C for beta calc
_v_add_lshl_u32 v48, v3, v4, 0x1                   // scaleToBpe: accumulate d0 lower and *= bpe into Cin addr
v_cndmask_b32 v48, -1, v48, s[58:59]               // LDD clip if OOB. offset
/* (d1,vc1,d0,vc0)=(1,3,0,3) */
_v_add_co_u32 v4, vcc, v0, 3                       // coord0.1: coord0 += d0*sg0*VW + vc0
v_cmp_lt_u32 s[54:55], v4, s[sgprSizeI]            // coord0 < size0
v_cmp_lt_u32 s[58:59], v1, s[sgprSizeJ]            // coord1 < size1
s_and_b64 s[58:59], s[54:55], s[58:59]             // in0 && in1
_v_add_lshl_u32 v51, v2, v4, 0x1                   // scaleToBpe: accumulate d0 lower and *= bpe into Cin addr
v_cndmask_b32 v51, -1, v51, s[58:59]               // LDC clip if OOB. offset
_buffer_load_d16_hi_b16 v52, v51, s[sgprSrdC:sgprSrdC+3], 0, offen offset:0 // load C for beta calc
_v_add_lshl_u32 v51, v3, v4, 0x1                   // scaleToBpe: accumulate d0 lower and *= bpe into Cin addr
v_cndmask_b32 v51, -1, v51, s[58:59]               // LDD clip if OOB. offset
s_sleep 3 // optimization: sync and wait
s_barrier
v_accvgpr_read_b32 v[vgprValuC+8], acc32 // copy acc to vreg[32]
v_accvgpr_read_b32 v[vgprValuC+11], acc36 // copy acc to vreg[33]
v_accvgpr_read_b32 v[vgprValuC+14], acc40 // copy acc to vreg[34]
v_accvgpr_read_b32 v[vgprValuC+17], acc44 // copy acc to vreg[35]
v_accvgpr_read_b32 v[vgprValuC+20], acc48 // copy acc to vreg[36]
v_accvgpr_read_b32 v[vgprValuC+23], acc52 // copy acc to vreg[37]
v_accvgpr_read_b32 v[vgprValuC+26], acc56 // copy acc to vreg[38]
v_accvgpr_read_b32 v[vgprValuC+29], acc60 // copy acc to vreg[39]
v_accvgpr_read_b32 v[vgprValuC+32], acc33 // copy acc to vreg[40]
v_accvgpr_read_b32 v[vgprValuC+35], acc37 // copy acc to vreg[41]
v_accvgpr_read_b32 v[vgprValuC+38], acc41 // copy acc to vreg[42]
v_accvgpr_read_b32 v[vgprValuC+41], acc45 // copy acc to vreg[43]
v_accvgpr_read_b32 v[vgprValuC+44], acc49 // copy acc to vreg[44]
v_accvgpr_read_b32 v[vgprValuC+47], acc53 // copy acc to vreg[45]
v_accvgpr_read_b32 v[vgprValuC+50], acc57 // copy acc to vreg[46]
v_accvgpr_read_b32 v[vgprValuC+53], acc61 // copy acc to vreg[47]
s_nop 1                                            // 2 wait states required before reading vgpr

/* rC *= alpha batchElements=[(1, 0, 0, 0), (1, 0, 0, 1), (1, 0, 0, 2), (1, 0, 0, 3), (1, 0, 1, 0), (1, 0, 1, 1), (1, 0, 1, 2), (1, 0, 1, 3), (1, 0, 2, 0), (1, 0, 2, 1), (1, 0, 2, 2), (1, 0, 2, 3), (1, 0, 3, 0), (1, 0, 3, 1), (1, 0, 3, 2), (1, 0, 3, 3)] */
v_mul_f32 v[vgprValuC+8], s[sgprAlpha], v[vgprValuC+8] // *= alpha
v_mul_f32 v[vgprValuC+11], s[sgprAlpha], v[vgprValuC+11] // *= alpha
v_mul_f32 v[vgprValuC+14], s[sgprAlpha], v[vgprValuC+14] // *= alpha
v_mul_f32 v[vgprValuC+17], s[sgprAlpha], v[vgprValuC+17] // *= alpha
v_mul_f32 v[vgprValuC+20], s[sgprAlpha], v[vgprValuC+20] // *= alpha
v_mul_f32 v[vgprValuC+23], s[sgprAlpha], v[vgprValuC+23] // *= alpha
v_mul_f32 v[vgprValuC+26], s[sgprAlpha], v[vgprValuC+26] // *= alpha
v_mul_f32 v[vgprValuC+29], s[sgprAlpha], v[vgprValuC+29] // *= alpha
v_mul_f32 v[vgprValuC+32], s[sgprAlpha], v[vgprValuC+32] // *= alpha
v_mul_f32 v[vgprValuC+35], s[sgprAlpha], v[vgprValuC+35] // *= alpha
v_mul_f32 v[vgprValuC+38], s[sgprAlpha], v[vgprValuC+38] // *= alpha
v_mul_f32 v[vgprValuC+41], s[sgprAlpha], v[vgprValuC+41] // *= alpha
v_mul_f32 v[vgprValuC+44], s[sgprAlpha], v[vgprValuC+44] // *= alpha
v_mul_f32 v[vgprValuC+47], s[sgprAlpha], v[vgprValuC+47] // *= alpha
v_mul_f32 v[vgprValuC+50], s[sgprAlpha], v[vgprValuC+50] // *= alpha
v_mul_f32 v[vgprValuC+53], s[sgprAlpha], v[vgprValuC+53] // *= alpha
s_waitcnt vmcnt(0)                                 // wait C

/* apply mask, calc new C and issue writes */
v_fma_mix_f32 v[vgprValuC+8], s[sgprBeta], v7, v[vgprValuC+8], op_sel:[0,0,0] op_sel_hi:[0,1,0] // //C*=beta
v_cvt_f16_f32 v[vgprValuC+8], v[vgprValuC+8]       // convert C to fp16
_buffer_store_b16 v8, v6, s[sgprSrdD:sgprSrdD+3], 0, offen, offset:0 // store D
v_fma_mix_f32 v[vgprValuC+11], s[sgprBeta], v10, v[vgprValuC+11], op_sel:[0,1,0] op_sel_hi:[0,1,0] // //C*=beta
v_cvt_f16_f32 v[vgprValuC+11], v[vgprValuC+11]     // convert C to fp16
_buffer_store_b16 v11, v9, s[sgprSrdD:sgprSrdD+3], 0, offen, offset:0 // store D
v_fma_mix_f32 v[vgprValuC+14], s[sgprBeta], v13, v[vgprValuC+14], op_sel:[0,0,0] op_sel_hi:[0,1,0] // //C*=beta
v_cvt_f16_f32 v[vgprValuC+14], v[vgprValuC+14]     // convert C to fp16
	;; [unrolled: 3-line block ×15, first 2 shown]
_buffer_store_b16 v53, v51, s[sgprSrdD:sgprSrdD+3], 0, offen, offset:0 // store D
s_nop 0                                            // 1 wait state required when next inst writes vgprs held by previous dwordx4 store inst
/* optSingleColVgpr=0 optSharedColVgpr=0 optSGPRUsage=BufferLoad_Edge_Mask optSrdIncForRow=0 */
s_sleep 3 // optimization: sync and wait
s_barrier

/******************************************/
/* Global Write Alpha Beta Edge Batch #3 (d1,d0,vc1,vc0) = */
/*    (1,0,4,0:vw1); (1,0,4,1:vw1); (1,0,4,2:vw1); (1,0,4,3:vw1); (1,0,5,0:vw1); (1,0,5,1:vw1); (1,0,5,2:vw1); (1,0,5,3:vw1); (1,0,6,0:vw1); (1,0,6,1:vw1); (1,0,6,2:vw1); (1,0,6,3:vw1); (1,0,7,0:vw1); (1,0,7,1:vw1); (1,0,7,2:vw1); (1,0,7,3:vw1) */
/******************************************/

/* calc coords, apply mask, and issue loads (if necessary) */
/* (d1,vc1,d0,vc0)=(1,4,0,0) */
_v_add_co_u32 v1, vcc, v1, 1                       // coord1.1: coord1Vgpr += d1*sg1*VW + vc1

/* Fix for UseInitialStridesCD, emitAddressSetupCode */
_v_add_u32 v2, v2, s[sgprStrideC1J]                // ROWINC- Move cinRowPtr to next row
_v_add_u32 v3, v3, s[sgprStrideD1J]                // Move coutRowPtr to next row
v_cmp_lt_u32 s[54:55], v0, s[sgprSizeI]            // coord0 < size0
v_cmp_lt_u32 s[58:59], v1, s[sgprSizeJ]            // coord1 < size1
s_and_b64 s[58:59], s[54:55], s[58:59]             // in0 && in1
_v_add_lshl_u32 v6, v2, v0, 0x1                    // scaleToBpe: accumulate d0 lower and *= bpe into Cin addr
v_cndmask_b32 v6, -1, v6, s[58:59]                 // LDC clip if OOB. offset
_buffer_load_d16_b16 v7, v6, s[sgprSrdC:sgprSrdC+3], 0, offen offset:0 // load C for beta calc
_v_add_lshl_u32 v6, v3, v0, 0x1                    // scaleToBpe: accumulate d0 lower and *= bpe into Cin addr
v_cndmask_b32 v6, -1, v6, s[58:59]                 // LDD clip if OOB. offset
/* (d1,vc1,d0,vc0)=(1,4,0,1) */
_v_add_co_u32 v4, vcc, v0, 1                       // coord0.1: coord0 += d0*sg0*VW + vc0
v_cmp_lt_u32 s[54:55], v4, s[sgprSizeI]            // coord0 < size0
v_cmp_lt_u32 s[58:59], v1, s[sgprSizeJ]            // coord1 < size1
s_and_b64 s[58:59], s[54:55], s[58:59]             // in0 && in1
_v_add_lshl_u32 v9, v2, v4, 0x1                    // scaleToBpe: accumulate d0 lower and *= bpe into Cin addr
v_cndmask_b32 v9, -1, v9, s[58:59]                 // LDC clip if OOB. offset
_buffer_load_d16_hi_b16 v10, v9, s[sgprSrdC:sgprSrdC+3], 0, offen offset:0 // load C for beta calc
_v_add_lshl_u32 v9, v3, v4, 0x1                    // scaleToBpe: accumulate d0 lower and *= bpe into Cin addr
v_cndmask_b32 v9, -1, v9, s[58:59]                 // LDD clip if OOB. offset
/* (d1,vc1,d0,vc0)=(1,4,0,2) */
_v_add_co_u32 v4, vcc, v0, 2                       // coord0.1: coord0 += d0*sg0*VW + vc0
v_cmp_lt_u32 s[54:55], v4, s[sgprSizeI]            // coord0 < size0
v_cmp_lt_u32 s[58:59], v1, s[sgprSizeJ]            // coord1 < size1
s_and_b64 s[58:59], s[54:55], s[58:59]             // in0 && in1
_v_add_lshl_u32 v12, v2, v4, 0x1                   // scaleToBpe: accumulate d0 lower and *= bpe into Cin addr
v_cndmask_b32 v12, -1, v12, s[58:59]               // LDC clip if OOB. offset
_buffer_load_d16_b16 v13, v12, s[sgprSrdC:sgprSrdC+3], 0, offen offset:0 // load C for beta calc
_v_add_lshl_u32 v12, v3, v4, 0x1                   // scaleToBpe: accumulate d0 lower and *= bpe into Cin addr
v_cndmask_b32 v12, -1, v12, s[58:59]               // LDD clip if OOB. offset
/* (d1,vc1,d0,vc0)=(1,4,0,3) */
_v_add_co_u32 v4, vcc, v0, 3                       // coord0.1: coord0 += d0*sg0*VW + vc0
v_cmp_lt_u32 s[54:55], v4, s[sgprSizeI]            // coord0 < size0
v_cmp_lt_u32 s[58:59], v1, s[sgprSizeJ]            // coord1 < size1
s_and_b64 s[58:59], s[54:55], s[58:59]             // in0 && in1
_v_add_lshl_u32 v15, v2, v4, 0x1                   // scaleToBpe: accumulate d0 lower and *= bpe into Cin addr
v_cndmask_b32 v15, -1, v15, s[58:59]               // LDC clip if OOB. offset
_buffer_load_d16_hi_b16 v16, v15, s[sgprSrdC:sgprSrdC+3], 0, offen offset:0 // load C for beta calc
_v_add_lshl_u32 v15, v3, v4, 0x1                   // scaleToBpe: accumulate d0 lower and *= bpe into Cin addr
v_cndmask_b32 v15, -1, v15, s[58:59]               // LDD clip if OOB. offset
/* (d1,vc1,d0,vc0)=(1,5,0,0) */
_v_add_co_u32 v1, vcc, v1, 1                       // coord1.1: coord1Vgpr += d1*sg1*VW + vc1

/* Fix for UseInitialStridesCD, emitAddressSetupCode */
_v_add_u32 v2, v2, s[sgprStrideC1J]                // ROWINC- Move cinRowPtr to next row
_v_add_u32 v3, v3, s[sgprStrideD1J]                // Move coutRowPtr to next row
v_cmp_lt_u32 s[54:55], v0, s[sgprSizeI]            // coord0 < size0
v_cmp_lt_u32 s[58:59], v1, s[sgprSizeJ]            // coord1 < size1
s_and_b64 s[58:59], s[54:55], s[58:59]             // in0 && in1
_v_add_lshl_u32 v18, v2, v0, 0x1                   // scaleToBpe: accumulate d0 lower and *= bpe into Cin addr
v_cndmask_b32 v18, -1, v18, s[58:59]               // LDC clip if OOB. offset
_buffer_load_d16_b16 v19, v18, s[sgprSrdC:sgprSrdC+3], 0, offen offset:0 // load C for beta calc
_v_add_lshl_u32 v18, v3, v0, 0x1                   // scaleToBpe: accumulate d0 lower and *= bpe into Cin addr
v_cndmask_b32 v18, -1, v18, s[58:59]               // LDD clip if OOB. offset
/* (d1,vc1,d0,vc0)=(1,5,0,1) */
_v_add_co_u32 v4, vcc, v0, 1                       // coord0.1: coord0 += d0*sg0*VW + vc0
v_cmp_lt_u32 s[54:55], v4, s[sgprSizeI]            // coord0 < size0
v_cmp_lt_u32 s[58:59], v1, s[sgprSizeJ]            // coord1 < size1
s_and_b64 s[58:59], s[54:55], s[58:59]             // in0 && in1
_v_add_lshl_u32 v21, v2, v4, 0x1                   // scaleToBpe: accumulate d0 lower and *= bpe into Cin addr
v_cndmask_b32 v21, -1, v21, s[58:59]               // LDC clip if OOB. offset
_buffer_load_d16_hi_b16 v22, v21, s[sgprSrdC:sgprSrdC+3], 0, offen offset:0 // load C for beta calc
_v_add_lshl_u32 v21, v3, v4, 0x1                   // scaleToBpe: accumulate d0 lower and *= bpe into Cin addr
v_cndmask_b32 v21, -1, v21, s[58:59]               // LDD clip if OOB. offset
/* (d1,vc1,d0,vc0)=(1,5,0,2) */
_v_add_co_u32 v4, vcc, v0, 2                       // coord0.1: coord0 += d0*sg0*VW + vc0
v_cmp_lt_u32 s[54:55], v4, s[sgprSizeI]            // coord0 < size0
v_cmp_lt_u32 s[58:59], v1, s[sgprSizeJ]            // coord1 < size1
s_and_b64 s[58:59], s[54:55], s[58:59]             // in0 && in1
_v_add_lshl_u32 v24, v2, v4, 0x1                   // scaleToBpe: accumulate d0 lower and *= bpe into Cin addr
v_cndmask_b32 v24, -1, v24, s[58:59]               // LDC clip if OOB. offset
_buffer_load_d16_b16 v25, v24, s[sgprSrdC:sgprSrdC+3], 0, offen offset:0 // load C for beta calc
_v_add_lshl_u32 v24, v3, v4, 0x1                   // scaleToBpe: accumulate d0 lower and *= bpe into Cin addr
v_cndmask_b32 v24, -1, v24, s[58:59]               // LDD clip if OOB. offset
/* (d1,vc1,d0,vc0)=(1,5,0,3) */
_v_add_co_u32 v4, vcc, v0, 3                       // coord0.1: coord0 += d0*sg0*VW + vc0
v_cmp_lt_u32 s[54:55], v4, s[sgprSizeI]            // coord0 < size0
v_cmp_lt_u32 s[58:59], v1, s[sgprSizeJ]            // coord1 < size1
s_and_b64 s[58:59], s[54:55], s[58:59]             // in0 && in1
_v_add_lshl_u32 v27, v2, v4, 0x1                   // scaleToBpe: accumulate d0 lower and *= bpe into Cin addr
v_cndmask_b32 v27, -1, v27, s[58:59]               // LDC clip if OOB. offset
_buffer_load_d16_hi_b16 v28, v27, s[sgprSrdC:sgprSrdC+3], 0, offen offset:0 // load C for beta calc
_v_add_lshl_u32 v27, v3, v4, 0x1                   // scaleToBpe: accumulate d0 lower and *= bpe into Cin addr
v_cndmask_b32 v27, -1, v27, s[58:59]               // LDD clip if OOB. offset
/* (d1,vc1,d0,vc0)=(1,6,0,0) */
_v_add_co_u32 v1, vcc, v1, 1                       // coord1.1: coord1Vgpr += d1*sg1*VW + vc1

/* Fix for UseInitialStridesCD, emitAddressSetupCode */
_v_add_u32 v2, v2, s[sgprStrideC1J]                // ROWINC- Move cinRowPtr to next row
_v_add_u32 v3, v3, s[sgprStrideD1J]                // Move coutRowPtr to next row
v_cmp_lt_u32 s[54:55], v0, s[sgprSizeI]            // coord0 < size0
v_cmp_lt_u32 s[58:59], v1, s[sgprSizeJ]            // coord1 < size1
s_and_b64 s[58:59], s[54:55], s[58:59]             // in0 && in1
_v_add_lshl_u32 v30, v2, v0, 0x1                   // scaleToBpe: accumulate d0 lower and *= bpe into Cin addr
v_cndmask_b32 v30, -1, v30, s[58:59]               // LDC clip if OOB. offset
_buffer_load_d16_b16 v31, v30, s[sgprSrdC:sgprSrdC+3], 0, offen offset:0 // load C for beta calc
_v_add_lshl_u32 v30, v3, v0, 0x1                   // scaleToBpe: accumulate d0 lower and *= bpe into Cin addr
v_cndmask_b32 v30, -1, v30, s[58:59]               // LDD clip if OOB. offset
/* (d1,vc1,d0,vc0)=(1,6,0,1) */
_v_add_co_u32 v4, vcc, v0, 1                       // coord0.1: coord0 += d0*sg0*VW + vc0
v_cmp_lt_u32 s[54:55], v4, s[sgprSizeI]            // coord0 < size0
v_cmp_lt_u32 s[58:59], v1, s[sgprSizeJ]            // coord1 < size1
s_and_b64 s[58:59], s[54:55], s[58:59]             // in0 && in1
_v_add_lshl_u32 v33, v2, v4, 0x1                   // scaleToBpe: accumulate d0 lower and *= bpe into Cin addr
v_cndmask_b32 v33, -1, v33, s[58:59]               // LDC clip if OOB. offset
_buffer_load_d16_hi_b16 v34, v33, s[sgprSrdC:sgprSrdC+3], 0, offen offset:0 // load C for beta calc
_v_add_lshl_u32 v33, v3, v4, 0x1                   // scaleToBpe: accumulate d0 lower and *= bpe into Cin addr
v_cndmask_b32 v33, -1, v33, s[58:59]               // LDD clip if OOB. offset
	;; [unrolled: 44-line block ×3, first 2 shown]
/* (d1,vc1,d0,vc0)=(1,7,0,2) */
_v_add_co_u32 v4, vcc, v0, 2                       // coord0.1: coord0 += d0*sg0*VW + vc0
v_cmp_lt_u32 s[54:55], v4, s[sgprSizeI]            // coord0 < size0
v_cmp_lt_u32 s[58:59], v1, s[sgprSizeJ]            // coord1 < size1
s_and_b64 s[58:59], s[54:55], s[58:59]             // in0 && in1
_v_add_lshl_u32 v48, v2, v4, 0x1                   // scaleToBpe: accumulate d0 lower and *= bpe into Cin addr
v_cndmask_b32 v48, -1, v48, s[58:59]               // LDC clip if OOB. offset
_buffer_load_d16_b16 v49, v48, s[sgprSrdC:sgprSrdC+3], 0, offen offset:0 // load C for beta calc
_v_add_lshl_u32 v48, v3, v4, 0x1                   // scaleToBpe: accumulate d0 lower and *= bpe into Cin addr
v_cndmask_b32 v48, -1, v48, s[58:59]               // LDD clip if OOB. offset
/* (d1,vc1,d0,vc0)=(1,7,0,3) */
_v_add_co_u32 v4, vcc, v0, 3                       // coord0.1: coord0 += d0*sg0*VW + vc0
v_cmp_lt_u32 s[54:55], v4, s[sgprSizeI]            // coord0 < size0
v_cmp_lt_u32 s[58:59], v1, s[sgprSizeJ]            // coord1 < size1
s_and_b64 s[58:59], s[54:55], s[58:59]             // in0 && in1
_v_add_lshl_u32 v51, v2, v4, 0x1                   // scaleToBpe: accumulate d0 lower and *= bpe into Cin addr
v_cndmask_b32 v51, -1, v51, s[58:59]               // LDC clip if OOB. offset
_buffer_load_d16_hi_b16 v52, v51, s[sgprSrdC:sgprSrdC+3], 0, offen offset:0 // load C for beta calc
_v_add_lshl_u32 v51, v3, v4, 0x1                   // scaleToBpe: accumulate d0 lower and *= bpe into Cin addr
v_cndmask_b32 v51, -1, v51, s[58:59]               // LDD clip if OOB. offset
s_sleep 3 // optimization: sync and wait
s_barrier
v_accvgpr_read_b32 v[vgprValuC+8], acc34 // copy acc to vreg[48]
v_accvgpr_read_b32 v[vgprValuC+11], acc38 // copy acc to vreg[49]
v_accvgpr_read_b32 v[vgprValuC+14], acc42 // copy acc to vreg[50]
v_accvgpr_read_b32 v[vgprValuC+17], acc46 // copy acc to vreg[51]
v_accvgpr_read_b32 v[vgprValuC+20], acc50 // copy acc to vreg[52]
v_accvgpr_read_b32 v[vgprValuC+23], acc54 // copy acc to vreg[53]
v_accvgpr_read_b32 v[vgprValuC+26], acc58 // copy acc to vreg[54]
v_accvgpr_read_b32 v[vgprValuC+29], acc62 // copy acc to vreg[55]
v_accvgpr_read_b32 v[vgprValuC+32], acc35 // copy acc to vreg[56]
v_accvgpr_read_b32 v[vgprValuC+35], acc39 // copy acc to vreg[57]
v_accvgpr_read_b32 v[vgprValuC+38], acc43 // copy acc to vreg[58]
v_accvgpr_read_b32 v[vgprValuC+41], acc47 // copy acc to vreg[59]
v_accvgpr_read_b32 v[vgprValuC+44], acc51 // copy acc to vreg[60]
v_accvgpr_read_b32 v[vgprValuC+47], acc55 // copy acc to vreg[61]
v_accvgpr_read_b32 v[vgprValuC+50], acc59 // copy acc to vreg[62]
v_accvgpr_read_b32 v[vgprValuC+53], acc63 // copy acc to vreg[63]
s_nop 1                                            // 2 wait states required before reading vgpr

/* rC *= alpha batchElements=[(1, 0, 4, 0), (1, 0, 4, 1), (1, 0, 4, 2), (1, 0, 4, 3), (1, 0, 5, 0), (1, 0, 5, 1), (1, 0, 5, 2), (1, 0, 5, 3), (1, 0, 6, 0), (1, 0, 6, 1), (1, 0, 6, 2), (1, 0, 6, 3), (1, 0, 7, 0), (1, 0, 7, 1), (1, 0, 7, 2), (1, 0, 7, 3)] */
v_mul_f32 v[vgprValuC+8], s[sgprAlpha], v[vgprValuC+8] // *= alpha
v_mul_f32 v[vgprValuC+11], s[sgprAlpha], v[vgprValuC+11] // *= alpha
	;; [unrolled: 1-line block ×16, first 2 shown]
s_waitcnt vmcnt(0)                                 // wait C

/* apply mask, calc new C and issue writes */
v_fma_mix_f32 v[vgprValuC+8], s[sgprBeta], v7, v[vgprValuC+8], op_sel:[0,0,0] op_sel_hi:[0,1,0] // //C*=beta
v_cvt_f16_f32 v[vgprValuC+8], v[vgprValuC+8]       // convert C to fp16
_buffer_store_b16 v8, v6, s[sgprSrdD:sgprSrdD+3], 0, offen, offset:0 // store D
v_fma_mix_f32 v[vgprValuC+11], s[sgprBeta], v10, v[vgprValuC+11], op_sel:[0,1,0] op_sel_hi:[0,1,0] // //C*=beta
v_cvt_f16_f32 v[vgprValuC+11], v[vgprValuC+11]     // convert C to fp16
_buffer_store_b16 v11, v9, s[sgprSrdD:sgprSrdD+3], 0, offen, offset:0 // store D
v_fma_mix_f32 v[vgprValuC+14], s[sgprBeta], v13, v[vgprValuC+14], op_sel:[0,0,0] op_sel_hi:[0,1,0] // //C*=beta
v_cvt_f16_f32 v[vgprValuC+14], v[vgprValuC+14]     // convert C to fp16
	;; [unrolled: 3-line block ×15, first 2 shown]
_buffer_store_b16 v53, v51, s[sgprSrdD:sgprSrdD+3], 0, offen, offset:0 // store D
s_nop 0                                            // 1 wait state required when next inst writes vgprs held by previous dwordx4 store inst
s_branch label_GW_End_108                          // jump to end
label_GW_End_108:

label_0113:  /// KernelEnd
s_endpgm                                           // Kernel End

